;; amdgpu-corpus repo=ROCm/rocFFT kind=compiled arch=gfx1030 opt=O3
	.text
	.amdgcn_target "amdgcn-amd-amdhsa--gfx1030"
	.amdhsa_code_object_version 6
	.protected	fft_rtc_back_len2700_factors_3_10_10_3_3_wgs_90_tpt_90_halfLds_sp_ip_CI_unitstride_sbrr_dirReg ; -- Begin function fft_rtc_back_len2700_factors_3_10_10_3_3_wgs_90_tpt_90_halfLds_sp_ip_CI_unitstride_sbrr_dirReg
	.globl	fft_rtc_back_len2700_factors_3_10_10_3_3_wgs_90_tpt_90_halfLds_sp_ip_CI_unitstride_sbrr_dirReg
	.p2align	8
	.type	fft_rtc_back_len2700_factors_3_10_10_3_3_wgs_90_tpt_90_halfLds_sp_ip_CI_unitstride_sbrr_dirReg,@function
fft_rtc_back_len2700_factors_3_10_10_3_3_wgs_90_tpt_90_halfLds_sp_ip_CI_unitstride_sbrr_dirReg: ; @fft_rtc_back_len2700_factors_3_10_10_3_3_wgs_90_tpt_90_halfLds_sp_ip_CI_unitstride_sbrr_dirReg
; %bb.0:
	s_clause 0x2
	s_load_dwordx4 s[8:11], s[4:5], 0x0
	s_load_dwordx2 s[2:3], s[4:5], 0x50
	s_load_dwordx2 s[12:13], s[4:5], 0x18
	v_mul_u32_u24_e32 v1, 0x2d9, v0
	v_mov_b32_e32 v3, 0
	v_add_nc_u32_sdwa v5, s6, v1 dst_sel:DWORD dst_unused:UNUSED_PAD src0_sel:DWORD src1_sel:WORD_1
	v_mov_b32_e32 v1, 0
	v_mov_b32_e32 v6, v3
	v_mov_b32_e32 v2, 0
	s_waitcnt lgkmcnt(0)
	v_cmp_lt_u64_e64 s0, s[10:11], 2
	s_and_b32 vcc_lo, exec_lo, s0
	s_cbranch_vccnz .LBB0_8
; %bb.1:
	s_load_dwordx2 s[0:1], s[4:5], 0x10
	v_mov_b32_e32 v1, 0
	s_add_u32 s6, s12, 8
	v_mov_b32_e32 v2, 0
	s_addc_u32 s7, s13, 0
	s_mov_b64 s[16:17], 1
	s_waitcnt lgkmcnt(0)
	s_add_u32 s14, s0, 8
	s_addc_u32 s15, s1, 0
.LBB0_2:                                ; =>This Inner Loop Header: Depth=1
	s_load_dwordx2 s[18:19], s[14:15], 0x0
                                        ; implicit-def: $vgpr7_vgpr8
	s_mov_b32 s0, exec_lo
	s_waitcnt lgkmcnt(0)
	v_or_b32_e32 v4, s19, v6
	v_cmpx_ne_u64_e32 0, v[3:4]
	s_xor_b32 s1, exec_lo, s0
	s_cbranch_execz .LBB0_4
; %bb.3:                                ;   in Loop: Header=BB0_2 Depth=1
	v_cvt_f32_u32_e32 v4, s18
	v_cvt_f32_u32_e32 v7, s19
	s_sub_u32 s0, 0, s18
	s_subb_u32 s20, 0, s19
	v_fmac_f32_e32 v4, 0x4f800000, v7
	v_rcp_f32_e32 v4, v4
	v_mul_f32_e32 v4, 0x5f7ffffc, v4
	v_mul_f32_e32 v7, 0x2f800000, v4
	v_trunc_f32_e32 v7, v7
	v_fmac_f32_e32 v4, 0xcf800000, v7
	v_cvt_u32_f32_e32 v7, v7
	v_cvt_u32_f32_e32 v4, v4
	v_mul_lo_u32 v8, s0, v7
	v_mul_hi_u32 v9, s0, v4
	v_mul_lo_u32 v10, s20, v4
	v_add_nc_u32_e32 v8, v9, v8
	v_mul_lo_u32 v9, s0, v4
	v_add_nc_u32_e32 v8, v8, v10
	v_mul_hi_u32 v10, v4, v9
	v_mul_lo_u32 v11, v4, v8
	v_mul_hi_u32 v12, v4, v8
	v_mul_hi_u32 v13, v7, v9
	v_mul_lo_u32 v9, v7, v9
	v_mul_hi_u32 v14, v7, v8
	v_mul_lo_u32 v8, v7, v8
	v_add_co_u32 v10, vcc_lo, v10, v11
	v_add_co_ci_u32_e32 v11, vcc_lo, 0, v12, vcc_lo
	v_add_co_u32 v9, vcc_lo, v10, v9
	v_add_co_ci_u32_e32 v9, vcc_lo, v11, v13, vcc_lo
	v_add_co_ci_u32_e32 v10, vcc_lo, 0, v14, vcc_lo
	v_add_co_u32 v8, vcc_lo, v9, v8
	v_add_co_ci_u32_e32 v9, vcc_lo, 0, v10, vcc_lo
	v_add_co_u32 v4, vcc_lo, v4, v8
	v_add_co_ci_u32_e32 v7, vcc_lo, v7, v9, vcc_lo
	v_mul_hi_u32 v8, s0, v4
	v_mul_lo_u32 v10, s20, v4
	v_mul_lo_u32 v9, s0, v7
	v_add_nc_u32_e32 v8, v8, v9
	v_mul_lo_u32 v9, s0, v4
	v_add_nc_u32_e32 v8, v8, v10
	v_mul_hi_u32 v10, v4, v9
	v_mul_lo_u32 v11, v4, v8
	v_mul_hi_u32 v12, v4, v8
	v_mul_hi_u32 v13, v7, v9
	v_mul_lo_u32 v9, v7, v9
	v_mul_hi_u32 v14, v7, v8
	v_mul_lo_u32 v8, v7, v8
	v_add_co_u32 v10, vcc_lo, v10, v11
	v_add_co_ci_u32_e32 v11, vcc_lo, 0, v12, vcc_lo
	v_add_co_u32 v9, vcc_lo, v10, v9
	v_add_co_ci_u32_e32 v9, vcc_lo, v11, v13, vcc_lo
	v_add_co_ci_u32_e32 v10, vcc_lo, 0, v14, vcc_lo
	v_add_co_u32 v8, vcc_lo, v9, v8
	v_add_co_ci_u32_e32 v9, vcc_lo, 0, v10, vcc_lo
	v_add_co_u32 v4, vcc_lo, v4, v8
	v_add_co_ci_u32_e32 v11, vcc_lo, v7, v9, vcc_lo
	v_mul_hi_u32 v13, v5, v4
	v_mad_u64_u32 v[9:10], null, v6, v4, 0
	v_mad_u64_u32 v[7:8], null, v5, v11, 0
	;; [unrolled: 1-line block ×3, first 2 shown]
	v_add_co_u32 v4, vcc_lo, v13, v7
	v_add_co_ci_u32_e32 v7, vcc_lo, 0, v8, vcc_lo
	v_add_co_u32 v4, vcc_lo, v4, v9
	v_add_co_ci_u32_e32 v4, vcc_lo, v7, v10, vcc_lo
	v_add_co_ci_u32_e32 v7, vcc_lo, 0, v12, vcc_lo
	v_add_co_u32 v4, vcc_lo, v4, v11
	v_add_co_ci_u32_e32 v9, vcc_lo, 0, v7, vcc_lo
	v_mul_lo_u32 v10, s19, v4
	v_mad_u64_u32 v[7:8], null, s18, v4, 0
	v_mul_lo_u32 v11, s18, v9
	v_sub_co_u32 v7, vcc_lo, v5, v7
	v_add3_u32 v8, v8, v11, v10
	v_sub_nc_u32_e32 v10, v6, v8
	v_subrev_co_ci_u32_e64 v10, s0, s19, v10, vcc_lo
	v_add_co_u32 v11, s0, v4, 2
	v_add_co_ci_u32_e64 v12, s0, 0, v9, s0
	v_sub_co_u32 v13, s0, v7, s18
	v_sub_co_ci_u32_e32 v8, vcc_lo, v6, v8, vcc_lo
	v_subrev_co_ci_u32_e64 v10, s0, 0, v10, s0
	v_cmp_le_u32_e32 vcc_lo, s18, v13
	v_cmp_eq_u32_e64 s0, s19, v8
	v_cndmask_b32_e64 v13, 0, -1, vcc_lo
	v_cmp_le_u32_e32 vcc_lo, s19, v10
	v_cndmask_b32_e64 v14, 0, -1, vcc_lo
	v_cmp_le_u32_e32 vcc_lo, s18, v7
	;; [unrolled: 2-line block ×3, first 2 shown]
	v_cndmask_b32_e64 v15, 0, -1, vcc_lo
	v_cmp_eq_u32_e32 vcc_lo, s19, v10
	v_cndmask_b32_e64 v7, v15, v7, s0
	v_cndmask_b32_e32 v10, v14, v13, vcc_lo
	v_add_co_u32 v13, vcc_lo, v4, 1
	v_add_co_ci_u32_e32 v14, vcc_lo, 0, v9, vcc_lo
	v_cmp_ne_u32_e32 vcc_lo, 0, v10
	v_cndmask_b32_e32 v8, v14, v12, vcc_lo
	v_cndmask_b32_e32 v10, v13, v11, vcc_lo
	v_cmp_ne_u32_e32 vcc_lo, 0, v7
	v_cndmask_b32_e32 v8, v9, v8, vcc_lo
	v_cndmask_b32_e32 v7, v4, v10, vcc_lo
.LBB0_4:                                ;   in Loop: Header=BB0_2 Depth=1
	s_andn2_saveexec_b32 s0, s1
	s_cbranch_execz .LBB0_6
; %bb.5:                                ;   in Loop: Header=BB0_2 Depth=1
	v_cvt_f32_u32_e32 v4, s18
	s_sub_i32 s1, 0, s18
	v_rcp_iflag_f32_e32 v4, v4
	v_mul_f32_e32 v4, 0x4f7ffffe, v4
	v_cvt_u32_f32_e32 v4, v4
	v_mul_lo_u32 v7, s1, v4
	v_mul_hi_u32 v7, v4, v7
	v_add_nc_u32_e32 v4, v4, v7
	v_mul_hi_u32 v4, v5, v4
	v_mul_lo_u32 v7, v4, s18
	v_add_nc_u32_e32 v8, 1, v4
	v_sub_nc_u32_e32 v7, v5, v7
	v_subrev_nc_u32_e32 v9, s18, v7
	v_cmp_le_u32_e32 vcc_lo, s18, v7
	v_cndmask_b32_e32 v7, v7, v9, vcc_lo
	v_cndmask_b32_e32 v4, v4, v8, vcc_lo
	v_cmp_le_u32_e32 vcc_lo, s18, v7
	v_add_nc_u32_e32 v8, 1, v4
	v_cndmask_b32_e32 v7, v4, v8, vcc_lo
	v_mov_b32_e32 v8, v3
.LBB0_6:                                ;   in Loop: Header=BB0_2 Depth=1
	s_or_b32 exec_lo, exec_lo, s0
	s_load_dwordx2 s[0:1], s[6:7], 0x0
	v_mul_lo_u32 v4, v8, s18
	v_mul_lo_u32 v11, v7, s19
	v_mad_u64_u32 v[9:10], null, v7, s18, 0
	s_add_u32 s16, s16, 1
	s_addc_u32 s17, s17, 0
	s_add_u32 s6, s6, 8
	s_addc_u32 s7, s7, 0
	;; [unrolled: 2-line block ×3, first 2 shown]
	v_add3_u32 v4, v10, v11, v4
	v_sub_co_u32 v5, vcc_lo, v5, v9
	v_sub_co_ci_u32_e32 v4, vcc_lo, v6, v4, vcc_lo
	s_waitcnt lgkmcnt(0)
	v_mul_lo_u32 v6, s1, v5
	v_mul_lo_u32 v4, s0, v4
	v_mad_u64_u32 v[1:2], null, s0, v5, v[1:2]
	v_cmp_ge_u64_e64 s0, s[16:17], s[10:11]
	s_and_b32 vcc_lo, exec_lo, s0
	v_add3_u32 v2, v6, v2, v4
	s_cbranch_vccnz .LBB0_9
; %bb.7:                                ;   in Loop: Header=BB0_2 Depth=1
	v_mov_b32_e32 v5, v7
	v_mov_b32_e32 v6, v8
	s_branch .LBB0_2
.LBB0_8:
	v_mov_b32_e32 v8, v6
	v_mov_b32_e32 v7, v5
.LBB0_9:
	s_lshl_b64 s[0:1], s[10:11], 3
	v_mul_hi_u32 v5, 0x2d82d83, v0
	s_add_u32 s0, s12, s0
	s_addc_u32 s1, s13, s1
                                        ; implicit-def: $vgpr60
                                        ; implicit-def: $vgpr58
                                        ; implicit-def: $vgpr16
                                        ; implicit-def: $vgpr66
                                        ; implicit-def: $vgpr68
                                        ; implicit-def: $vgpr12
                                        ; implicit-def: $vgpr78
                                        ; implicit-def: $vgpr56
                                        ; implicit-def: $vgpr14
                                        ; implicit-def: $vgpr83
                                        ; implicit-def: $vgpr34
                                        ; implicit-def: $vgpr18
                                        ; implicit-def: $vgpr46
                                        ; implicit-def: $vgpr54
                                        ; implicit-def: $vgpr52
                                        ; implicit-def: $vgpr32
                                        ; implicit-def: $vgpr20
                                        ; implicit-def: $vgpr64
                                        ; implicit-def: $vgpr48
                                        ; implicit-def: $vgpr22
                                        ; implicit-def: $vgpr72
                                        ; implicit-def: $vgpr74
                                        ; implicit-def: $vgpr76
                                        ; implicit-def: $vgpr9
                                        ; implicit-def: $vgpr81
                                        ; implicit-def: $vgpr87
                                        ; implicit-def: $vgpr24
                                        ; implicit-def: $vgpr85
	s_load_dwordx2 s[0:1], s[0:1], 0x0
	s_load_dwordx2 s[4:5], s[4:5], 0x20
	s_waitcnt lgkmcnt(0)
	v_mul_lo_u32 v3, s0, v8
	v_mul_lo_u32 v4, s1, v7
	v_mad_u64_u32 v[1:2], null, s0, v7, v[1:2]
	v_cmp_gt_u64_e32 vcc_lo, s[4:5], v[7:8]
                                        ; implicit-def: $vgpr7
	v_add3_u32 v2, v4, v2, v3
	v_mul_u32_u24_e32 v3, 0x5a, v5
                                        ; implicit-def: $vgpr5
	v_lshlrev_b64 v[1:2], 3, v[1:2]
	v_sub_nc_u32_e32 v3, v0, v3
	s_and_saveexec_b32 s1, vcc_lo
	s_cbranch_execz .LBB0_11
; %bb.10:
	v_mov_b32_e32 v4, 0
	v_add_co_u32 v0, s0, s2, v1
	v_add_co_ci_u32_e64 v6, s0, s3, v2, s0
	v_lshlrev_b64 v[4:5], 3, v[3:4]
	v_add_co_u32 v15, s0, v0, v4
	v_add_co_ci_u32_e64 v16, s0, v6, v5, s0
	v_add_co_u32 v25, s0, 0x1800, v15
	v_add_co_ci_u32_e64 v26, s0, 0, v16, s0
	v_add_co_u32 v4, s0, 0x2000, v15
	v_add_co_ci_u32_e64 v5, s0, 0, v16, s0
	v_add_co_u32 v8, s0, 0x3800, v15
	v_add_co_ci_u32_e64 v9, s0, 0, v16, s0
	s_clause 0x4
	global_load_dwordx2 v[23:24], v[25:26], off offset:1056
	global_load_dwordx2 v[31:32], v[4:5], off offset:1888
	;; [unrolled: 1-line block ×5, first 2 shown]
	v_add_co_u32 v4, s0, 0x800, v15
	v_add_co_ci_u32_e64 v5, s0, 0, v16, s0
	v_add_co_u32 v6, s0, 0x4000, v15
	v_add_co_ci_u32_e64 v7, s0, 0, v16, s0
	;; [unrolled: 2-line block ×3, first 2 shown]
	s_clause 0x7
	global_load_dwordx2 v[21:22], v[4:5], off offset:112
	global_load_dwordx2 v[19:20], v[4:5], off offset:832
	;; [unrolled: 1-line block ×8, first 2 shown]
	v_add_co_u32 v6, s0, 0x1000, v15
	v_add_co_ci_u32_e64 v7, s0, 0, v16, s0
	v_add_co_u32 v29, s0, 0x4800, v15
	v_add_co_ci_u32_e64 v30, s0, 0, v16, s0
	s_clause 0x3
	global_load_dwordx2 v[11:12], v[6:7], off offset:1664
	global_load_dwordx2 v[13:14], v[6:7], off offset:944
	;; [unrolled: 1-line block ×4, first 2 shown]
	v_add_co_u32 v27, s0, 0x3000, v15
	v_add_co_ci_u32_e64 v28, s0, 0, v16, s0
	v_add_co_u32 v35, s0, 0x5000, v15
	v_add_co_ci_u32_e64 v36, s0, 0, v16, s0
	s_clause 0xc
	global_load_dwordx2 v[6:7], v[8:9], off offset:784
	global_load_dwordx2 v[86:87], v[8:9], off offset:64
	;; [unrolled: 1-line block ×3, first 2 shown]
	global_load_dwordx2 v[84:85], v[15:16], off
	global_load_dwordx2 v[80:81], v[15:16], off offset:720
	global_load_dwordx2 v[75:76], v[15:16], off offset:1440
	;; [unrolled: 1-line block ×9, first 2 shown]
.LBB0_11:
	s_or_b32 exec_lo, exec_lo, s1
	s_waitcnt vmcnt(11)
	v_add_f32_e32 v0, v86, v23
	s_waitcnt vmcnt(10)
	v_add_f32_e32 v25, v6, v8
	;; [unrolled: 2-line block ×3, first 2 shown]
	v_sub_f32_e32 v26, v24, v87
	v_sub_f32_e32 v27, v9, v7
	v_fmac_f32_e32 v84, -0.5, v0
	s_waitcnt vmcnt(8)
	v_add_f32_e32 v0, v8, v80
	v_fmac_f32_e32 v80, -0.5, v25
	v_add_f32_e32 v28, v71, v73
	v_sub_f32_e32 v101, v8, v6
	v_fmamk_f32 v25, v26, 0xbf5db3d7, v84
	v_fmac_f32_e32 v84, 0x3f5db3d7, v26
	v_fmamk_f32 v26, v27, 0xbf5db3d7, v80
	v_fmac_f32_e32 v80, 0x3f5db3d7, v27
	v_add_f32_e32 v27, v9, v81
	v_add_f32_e32 v9, v7, v9
	;; [unrolled: 1-line block ×4, first 2 shown]
	s_waitcnt vmcnt(5)
	v_add_f32_e32 v35, v82, v33
	v_add_f32_e32 v100, v7, v27
	;; [unrolled: 1-line block ×4, first 2 shown]
	v_fmac_f32_e32 v75, -0.5, v28
	v_sub_f32_e32 v28, v74, v72
	v_fmac_f32_e32 v81, -0.5, v9
	v_add_f32_e32 v9, v47, v21
	v_fmac_f32_e32 v21, -0.5, v7
	v_sub_f32_e32 v7, v48, v64
	v_add_f32_e32 v27, v31, v19
	v_fmac_f32_e32 v19, -0.5, v8
	v_sub_f32_e32 v8, v32, v52
	;; [unrolled: 3-line block ×4, first 2 shown]
	v_add_f32_e32 v10, v86, v10
	v_add_f32_e32 v0, v6, v0
	v_fmamk_f32 v6, v28, 0xbf5db3d7, v75
	v_fmac_f32_e32 v75, 0x3f5db3d7, v28
	v_fmamk_f32 v28, v7, 0xbf5db3d7, v21
	v_fmac_f32_e32 v21, 0x3f5db3d7, v7
	;; [unrolled: 2-line block ×4, first 2 shown]
	v_mad_u32_u24 v102, v3, 12, 0
	v_fmamk_f32 v30, v35, 0xbf5db3d7, v17
	v_fmac_f32_e32 v17, 0x3f5db3d7, v35
	s_waitcnt vmcnt(4)
	v_add_f32_e32 v35, v77, v55
	v_add_f32_e32 v29, v71, v29
	ds_write2_b32 v102, v10, v25 offset1:1
	v_add_f32_e32 v10, v55, v13
	v_add_nc_u32_e32 v103, 0x438, v102
	v_fmac_f32_e32 v13, -0.5, v35
	v_sub_f32_e32 v25, v56, v78
	v_add_nc_u32_e32 v104, 0x870, v102
	v_add_f32_e32 v9, v63, v9
	ds_write2_b32 v103, v0, v26 offset1:1
	v_add_f32_e32 v27, v51, v27
	v_fmamk_f32 v0, v25, 0xbf5db3d7, v13
	v_fmac_f32_e32 v13, 0x3f5db3d7, v25
	s_waitcnt vmcnt(2)
	v_add_f32_e32 v25, v65, v67
	ds_write2_b32 v104, v29, v6 offset1:1
	v_add_nc_u32_e32 v105, 0xca8, v102
	v_add_f32_e32 v6, v67, v11
	v_add_nc_u32_e32 v106, 0x10e0, v102
	v_fmac_f32_e32 v11, -0.5, v25
	s_waitcnt vmcnt(0)
	v_add_f32_e32 v25, v59, v57
	v_add_f32_e32 v26, v45, v36
	v_add_nc_u32_e32 v107, 0x151c, v102
	v_add_f32_e32 v29, v82, v37
	ds_write2_b32 v105, v9, v28 offset1:1
	v_add_f32_e32 v9, v57, v15
	v_fmac_f32_e32 v15, -0.5, v25
	v_sub_f32_e32 v25, v68, v66
	v_add_f32_e32 v10, v77, v10
	ds_write2_b32 v106, v27, v7 offset1:1
	v_sub_f32_e32 v7, v58, v60
	ds_write_b32 v102, v84 offset:8
	ds_write_b32 v102, v80 offset:1088
	;; [unrolled: 1-line block ×5, first 2 shown]
	v_add_nc_u32_e32 v21, 0x1954, v102
	ds_write_b32 v102, v19 offset:4328
	ds_write2_b32 v107, v8, v4 offset1:1
	v_add_nc_u32_e32 v4, 0x1d8c, v102
	v_add_f32_e32 v6, v65, v6
	v_fmamk_f32 v27, v25, 0xbf5db3d7, v11
	v_fmac_f32_e32 v11, 0x3f5db3d7, v25
	v_fmamk_f32 v25, v7, 0xbf5db3d7, v15
	v_fmac_f32_e32 v15, 0x3f5db3d7, v7
	ds_write_b32 v102, v29 offset:6480
	ds_write2_b32 v21, v30, v17 offset1:1
	ds_write_b32 v102, v10 offset:7560
	ds_write2_b32 v4, v0, v13 offset1:1
	v_add_nc_u32_e32 v13, 0x25fc, v102
	v_add_nc_u32_e32 v17, 0x21c4, v102
	v_add_f32_e32 v9, v59, v9
	ds_write_b32 v102, v6 offset:8640
	ds_write2_b32 v17, v27, v11 offset1:1
	ds_write_b32 v102, v9 offset:9720
	ds_write2_b32 v13, v25, v15 offset1:1
	v_add_f32_e32 v15, v74, v76
	v_add_f32_e32 v19, v72, v74
	v_lshl_add_u32 v75, v3, 2, 0
	v_sub_f32_e32 v71, v73, v71
	v_sub_f32_e32 v47, v47, v63
	v_add_f32_e32 v15, v72, v15
	v_add_f32_e32 v72, v64, v48
	v_fmac_f32_e32 v76, -0.5, v19
	v_add_f32_e32 v19, v48, v22
	v_add_f32_e32 v48, v52, v32
	v_fmamk_f32 v74, v101, 0x3f5db3d7, v81
	v_fmac_f32_e32 v22, -0.5, v72
	v_add_f32_e32 v32, v32, v20
	v_sub_f32_e32 v31, v31, v51
	v_fmac_f32_e32 v20, -0.5, v48
	v_add_nc_u32_e32 v88, 0x200, v75
	v_fmamk_f32 v48, v71, 0x3f5db3d7, v76
	v_add_nc_u32_e32 v90, 0x800, v75
	v_add_f32_e32 v19, v64, v19
	v_fmamk_f32 v51, v47, 0x3f5db3d7, v22
	v_add_nc_u32_e32 v92, 0xa00, v75
	v_add_nc_u32_e32 v89, 0x1000, v75
	s_waitcnt lgkmcnt(0)
	s_barrier
	buffer_gl0_inv
	v_add_nc_u32_e32 v91, 0x1200, v75
	v_add_nc_u32_e32 v94, 0x1800, v75
	v_add_nc_u32_e32 v0, 0x1c00, v75
	v_add_nc_u32_e32 v93, 0x2000, v75
	v_add_nc_u32_e32 v95, 0x2400, v75
	v_add_nc_u32_e32 v96, 0x400, v75
	v_add_nc_u32_e32 v84, 0xc00, v75
	v_add_nc_u32_e32 v98, 0x1400, v75
	v_add_nc_u32_e32 v97, 0x1e00, v75
	v_add_nc_u32_e32 v99, 0x2600, v75
	ds_read2_b32 v[6:7], v75 offset1:90
	ds_read2_b32 v[8:9], v88 offset0:52 offset1:142
	ds_read2_b32 v[39:40], v90 offset0:28 offset1:118
	ds_read2_b32 v[79:80], v92 offset0:80 offset1:170
	ds_read2_b32 v[37:38], v89 offset0:56 offset1:146
	ds_read2_b32 v[69:70], v91 offset0:108 offset1:198
	ds_read2_b32 v[35:36], v94 offset0:84 offset1:174
	ds_read2_b32 v[61:62], v0 offset0:8 offset1:98
	ds_read2_b32 v[29:30], v93 offset0:112 offset1:202
	ds_read2_b32 v[25:26], v95 offset0:36 offset1:126
	ds_read2_b32 v[49:50], v96 offset0:104 offset1:194
	ds_read2_b32 v[43:44], v84 offset0:132 offset1:222
	ds_read2_b32 v[41:42], v98 offset0:160 offset1:250
	ds_read2_b32 v[27:28], v97 offset0:60 offset1:150
	ds_read2_b32 v[10:11], v99 offset0:88 offset1:178
	s_waitcnt lgkmcnt(0)
	s_barrier
	buffer_gl0_inv
	v_add_f32_e32 v32, v52, v32
	v_fmamk_f32 v52, v31, 0x3f5db3d7, v20
	ds_write2_b32 v103, v100, v74 offset1:1
	ds_write2_b32 v104, v15, v48 offset1:1
	;; [unrolled: 1-line block ×3, first 2 shown]
	v_add_f32_e32 v15, v24, v85
	v_add_f32_e32 v19, v87, v24
	;; [unrolled: 1-line block ×3, first 2 shown]
	ds_write2_b32 v106, v32, v52 offset1:1
	v_sub_f32_e32 v23, v23, v86
	v_add_f32_e32 v32, v46, v54
	v_fmac_f32_e32 v85, -0.5, v19
	v_add_f32_e32 v24, v46, v24
	v_add_f32_e32 v46, v56, v14
	;; [unrolled: 1-line block ×3, first 2 shown]
	v_sub_f32_e32 v45, v53, v45
	v_add_f32_e32 v48, v34, v18
	v_add_f32_e32 v34, v83, v34
	;; [unrolled: 1-line block ×3, first 2 shown]
	v_sub_f32_e32 v52, v55, v77
	v_add_f32_e32 v54, v78, v46
	v_add_f32_e32 v46, v66, v68
	;; [unrolled: 1-line block ×4, first 2 shown]
	v_fmamk_f32 v58, v23, 0x3f5db3d7, v85
	v_fmac_f32_e32 v5, -0.5, v32
	v_fmac_f32_e32 v85, 0xbf5db3d7, v23
	v_fmac_f32_e32 v81, 0xbf5db3d7, v101
	;; [unrolled: 1-line block ×4, first 2 shown]
	v_and_b32_e32 v47, 0xff, v3
	v_sub_f32_e32 v33, v33, v82
	v_add_f32_e32 v53, v68, v12
	v_sub_f32_e32 v19, v67, v65
	ds_write2_b32 v102, v15, v58 offset1:1
	ds_write_b32 v102, v85 offset:8
	v_fmac_f32_e32 v20, 0xbf5db3d7, v31
	v_fmac_f32_e32 v18, -0.5, v34
	v_fmamk_f32 v15, v45, 0x3f5db3d7, v5
	v_fmac_f32_e32 v5, 0xbf5db3d7, v45
	v_fmac_f32_e32 v12, -0.5, v46
	v_add_nc_u32_e32 v45, 0xb4, v3
	v_mov_b32_e32 v32, 0xaaab
	ds_write_b32 v102, v81 offset:1088
	ds_write_b32 v102, v76 offset:2168
	;; [unrolled: 1-line block ×3, first 2 shown]
	v_mul_lo_u16 v22, 0xab, v47
	ds_write_b32 v102, v20 offset:4328
	v_fmamk_f32 v20, v33, 0x3f5db3d7, v18
	v_fmac_f32_e32 v18, 0xbf5db3d7, v33
	v_fmamk_f32 v33, v19, 0x3f5db3d7, v12
	v_fmac_f32_e32 v12, 0xbf5db3d7, v19
	v_mul_u32_u24_sdwa v19, v45, v32 dst_sel:DWORD dst_unused:UNUSED_PAD src0_sel:WORD_0 src1_sel:DWORD
	v_add_nc_u32_e32 v46, 0x5a, v3
	v_fmac_f32_e32 v14, -0.5, v51
	v_sub_f32_e32 v23, v57, v59
	v_fmac_f32_e32 v16, -0.5, v56
	v_lshrrev_b16 v71, 9, v22
	v_lshrrev_b32_e32 v19, 17, v19
	v_add_f32_e32 v48, v83, v48
	v_and_b32_e32 v51, 0xff, v46
	v_add_f32_e32 v55, v60, v55
	v_fmamk_f32 v31, v52, 0x3f5db3d7, v14
	v_fmac_f32_e32 v14, 0xbf5db3d7, v52
	v_add_f32_e32 v53, v66, v53
	v_fmamk_f32 v22, v23, 0x3f5db3d7, v16
	v_fmac_f32_e32 v16, 0xbf5db3d7, v23
	v_mul_lo_u16 v23, v71, 3
	ds_write_b32 v102, v24 offset:5400
	ds_write2_b32 v107, v15, v5 offset1:1
	ds_write_b32 v102, v48 offset:6480
	ds_write2_b32 v21, v20, v18 offset1:1
	v_mul_lo_u16 v5, v19, 3
	ds_write_b32 v102, v54 offset:7560
	ds_write2_b32 v4, v31, v14 offset1:1
	ds_write_b32 v102, v53 offset:8640
	ds_write2_b32 v17, v33, v12 offset1:1
	;; [unrolled: 2-line block ×3, first 2 shown]
	v_mul_lo_u16 v12, 0xab, v51
	v_sub_nc_u16 v73, v3, v23
	v_mov_b32_e32 v48, 9
	v_sub_nc_u16 v18, v45, v5
	s_waitcnt lgkmcnt(0)
	v_lshrrev_b16 v31, 9, v12
	s_barrier
	v_mul_u32_u24_sdwa v4, v73, v48 dst_sel:DWORD dst_unused:UNUSED_PAD src0_sel:BYTE_0 src1_sel:DWORD
	v_mul_u32_u24_sdwa v5, v18, v48 dst_sel:DWORD dst_unused:UNUSED_PAD src0_sel:WORD_0 src1_sel:DWORD
	buffer_gl0_inv
	v_mul_lo_u16 v12, v31, 3
	v_mul_u32_u24_e32 v19, 0x78, v19
	v_lshlrev_b32_e32 v4, 3, v4
	v_lshlrev_b32_e32 v5, 3, v5
	v_sub_nc_u16 v32, v46, v12
	s_clause 0x4
	global_load_dwordx4 v[63:66], v4, s[8:9]
	global_load_dwordx4 v[100:103], v5, s[8:9]
	global_load_dwordx4 v[104:107], v4, s[8:9] offset:16
	global_load_dwordx4 v[112:115], v4, s[8:9] offset:32
	;; [unrolled: 1-line block ×3, first 2 shown]
	v_mul_u32_u24_sdwa v12, v32, v48 dst_sel:DWORD dst_unused:UNUSED_PAD src0_sel:BYTE_0 src1_sel:DWORD
	s_clause 0x1
	global_load_dwordx4 v[108:111], v5, s[8:9] offset:16
	global_load_dwordx4 v[116:119], v5, s[8:9] offset:32
	v_lshlrev_b32_e32 v12, 3, v12
	s_clause 0x7
	global_load_dwordx4 v[124:127], v12, s[8:9]
	global_load_dwordx4 v[128:131], v12, s[8:9] offset:16
	global_load_dwordx4 v[132:135], v12, s[8:9] offset:32
	;; [unrolled: 1-line block ×4, first 2 shown]
	global_load_dwordx2 v[82:83], v4, s[8:9] offset:64
	global_load_dwordx2 v[12:13], v12, s[8:9] offset:64
	;; [unrolled: 1-line block ×3, first 2 shown]
	ds_read2_b32 v[4:5], v88 offset0:52 offset1:142
	ds_read2_b32 v[58:59], v90 offset0:28 offset1:118
	ds_read2_b32 v[67:68], v96 offset0:104 offset1:194
	ds_read2_b32 v[33:34], v92 offset0:80 offset1:170
	ds_read2_b32 v[85:86], v89 offset0:56 offset1:146
	ds_read2_b32 v[144:145], v84 offset0:132 offset1:222
	ds_read2_b32 v[76:77], v91 offset0:108 offset1:198
	ds_read2_b32 v[146:147], v94 offset0:84 offset1:174
	ds_read2_b32 v[148:149], v98 offset0:160 offset1:250
	ds_read2_b32 v[150:151], v0 offset0:8 offset1:98
	ds_read2_b32 v[152:153], v93 offset0:112 offset1:202
	ds_read2_b32 v[154:155], v97 offset0:60 offset1:150
	ds_read2_b32 v[156:157], v95 offset0:36 offset1:126
	ds_read2_b32 v[16:17], v99 offset0:88 offset1:178
	s_waitcnt vmcnt(14)
	v_mul_f32_e32 v20, v9, v64
	v_mul_f32_e32 v21, v39, v66
	s_waitcnt vmcnt(13) lgkmcnt(11)
	v_mul_f32_e32 v52, v68, v101
	v_mul_f32_e32 v24, v50, v101
	;; [unrolled: 1-line block ×4, first 2 shown]
	s_waitcnt lgkmcnt(10)
	v_mul_f32_e32 v53, v33, v103
	v_mul_f32_e32 v55, v79, v103
	s_waitcnt vmcnt(12)
	v_mul_f32_e32 v60, v80, v105
	v_fma_f32 v64, v5, v63, -v20
	v_fma_f32 v20, v58, v65, -v21
	s_waitcnt vmcnt(11)
	v_mul_f32_e32 v58, v70, v113
	v_fmac_f32_e32 v52, v50, v100
	v_fma_f32 v50, v68, v100, -v24
	s_waitcnt vmcnt(10) lgkmcnt(3)
	v_mul_f32_e32 v24, v152, v123
	v_mul_f32_e32 v78, v34, v105
	;; [unrolled: 1-line block ×4, first 2 shown]
	v_fmac_f32_e32 v53, v79, v102
	v_fma_f32 v5, v33, v102, -v55
	s_waitcnt vmcnt(8)
	v_mul_f32_e32 v68, v42, v117
	v_fma_f32 v79, v34, v104, -v60
	v_mul_f32_e32 v60, v29, v123
	v_fma_f32 v33, v77, v112, -v58
	v_fmac_f32_e32 v24, v29, v122
	s_waitcnt vmcnt(4) lgkmcnt(2)
	v_mul_f32_e32 v77, v154, v137
	s_waitcnt vmcnt(3)
	v_mul_f32_e32 v29, v155, v141
	v_mul_f32_e32 v66, v37, v107
	v_fmac_f32_e32 v57, v9, v63
	v_fmac_f32_e32 v22, v39, v65
	v_mul_f32_e32 v39, v149, v117
	v_mul_f32_e32 v100, v61, v119
	v_fmac_f32_e32 v78, v80, v104
	v_mul_f32_e32 v80, v151, v121
	v_fmac_f32_e32 v23, v37, v106
	v_mul_f32_e32 v63, v59, v127
	v_mul_f32_e32 v102, v49, v125
	v_fma_f32 v37, v149, v116, -v68
	v_mul_f32_e32 v68, v147, v135
	v_mul_f32_e32 v103, v27, v137
	v_fmac_f32_e32 v77, v27, v136
	v_fmac_f32_e32 v29, v28, v140
	v_mul_f32_e32 v28, v28, v141
	s_waitcnt vmcnt(2) lgkmcnt(1)
	v_mul_f32_e32 v27, v157, v83
	v_mul_f32_e32 v72, v145, v109
	;; [unrolled: 1-line block ×6, first 2 shown]
	v_fma_f32 v21, v85, v106, -v66
	v_mul_f32_e32 v85, v40, v127
	v_mul_f32_e32 v55, v67, v125
	v_fmac_f32_e32 v39, v42, v116
	v_fma_f32 v42, v150, v118, -v100
	v_fmac_f32_e32 v80, v62, v120
	v_mul_f32_e32 v100, v36, v135
	v_mul_f32_e32 v66, v153, v139
	v_fmac_f32_e32 v63, v40, v126
	v_fma_f32 v62, v67, v124, -v102
	v_fmac_f32_e32 v68, v36, v134
	v_mul_f32_e32 v67, v156, v143
	v_mul_f32_e32 v40, v26, v83
	v_fma_f32 v36, v155, v140, -v28
	v_fmac_f32_e32 v27, v26, v82
	s_waitcnt vmcnt(1) lgkmcnt(0)
	v_mul_f32_e32 v26, v16, v13
	v_mul_f32_e32 v28, v10, v13
	s_waitcnt vmcnt(0)
	v_mul_f32_e32 v13, v17, v15
	v_mul_f32_e32 v74, v44, v109
	v_fmac_f32_e32 v72, v44, v108
	v_fmac_f32_e32 v54, v69, v110
	v_fma_f32 v44, v76, v110, -v87
	v_fmac_f32_e32 v81, v70, v112
	v_fmac_f32_e32 v56, v61, v118
	v_mul_f32_e32 v76, v148, v133
	v_fma_f32 v70, v152, v122, -v60
	v_mul_f32_e32 v60, v30, v139
	v_fmac_f32_e32 v66, v30, v138
	v_mul_f32_e32 v30, v25, v143
	v_fmac_f32_e32 v67, v25, v142
	;; [unrolled: 2-line block ×3, first 2 shown]
	v_fma_f32 v74, v145, v108, -v74
	v_fma_f32 v34, v151, v120, -v101
	v_mul_f32_e32 v101, v41, v133
	v_fmac_f32_e32 v76, v41, v132
	v_fma_f32 v41, v156, v142, -v30
	v_fma_f32 v25, v157, v82, -v40
	v_add_f32_e32 v30, v54, v56
	v_fmac_f32_e32 v26, v10, v12
	v_fma_f32 v82, v16, v12, -v28
	v_fma_f32 v12, v17, v14, -v15
	v_add_f32_e32 v11, v53, v67
	v_sub_f32_e32 v15, v54, v53
	v_sub_f32_e32 v16, v56, v67
	v_add_f32_e32 v17, v39, v29
	v_add_f32_e32 v28, v72, v13
	v_mul_f32_e32 v9, v146, v115
	v_mul_f32_e32 v65, v35, v115
	;; [unrolled: 1-line block ×3, first 2 shown]
	v_fma_f32 v10, -0.5, v30, v8
	v_add_f32_e32 v14, v8, v53
	v_fmac_f32_e32 v8, -0.5, v11
	v_add_f32_e32 v11, v15, v16
	v_fma_f32 v83, -0.5, v17, v52
	v_add_f32_e32 v16, v52, v72
	v_add_f32_e32 v15, v37, v36
	v_fmac_f32_e32 v52, -0.5, v28
	v_add_f32_e32 v28, v74, v12
	v_fmac_f32_e32 v9, v35, v114
	v_fma_f32 v69, v146, v114, -v65
	v_mul_f32_e32 v65, v86, v131
	v_mul_f32_e32 v35, v144, v129
	;; [unrolled: 1-line block ×3, first 2 shown]
	v_fma_f32 v58, v59, v126, -v85
	v_fma_f32 v61, v86, v130, -v61
	v_fma_f32 v85, -0.5, v15, v50
	v_add_f32_e32 v86, v50, v74
	v_fmac_f32_e32 v50, -0.5, v28
	v_sub_f32_e32 v109, v39, v29
	v_fmac_f32_e32 v55, v49, v124
	v_fmac_f32_e32 v65, v38, v130
	;; [unrolled: 1-line block ×3, first 2 shown]
	v_fma_f32 v38, v144, v128, -v87
	v_fma_f32 v49, v147, v134, -v100
	;; [unrolled: 1-line block ×5, first 2 shown]
	v_sub_f32_e32 v28, v37, v74
	v_sub_f32_e32 v40, v36, v12
	;; [unrolled: 1-line block ×3, first 2 shown]
	v_fmamk_f32 v100, v109, 0xbf737871, v50
	v_fmac_f32_e32 v50, 0x3f737871, v109
	v_sub_f32_e32 v112, v72, v13
	v_sub_f32_e32 v17, v39, v72
	;; [unrolled: 1-line block ×4, first 2 shown]
	v_fmamk_f32 v87, v110, 0x3f737871, v52
	v_fmac_f32_e32 v52, 0xbf737871, v110
	v_sub_f32_e32 v113, v74, v12
	v_add_f32_e32 v28, v28, v40
	v_fmac_f32_e32 v50, 0xbf167918, v112
	v_add_f32_e32 v102, v59, v60
	v_add_f32_e32 v116, v38, v82
	v_fmamk_f32 v15, v108, 0x3f737871, v8
	v_fmac_f32_e32 v8, 0xbf737871, v108
	v_sub_f32_e32 v111, v5, v41
	v_add_f32_e32 v17, v17, v30
	v_fmac_f32_e32 v52, 0x3f167918, v113
	v_add_f32_e32 v30, v65, v68
	v_fmac_f32_e32 v50, 0x3e9e377a, v28
	v_add_f32_e32 v40, v63, v66
	v_add_f32_e32 v101, v76, v77
	;; [unrolled: 1-line block ×3, first 2 shown]
	v_sub_f32_e32 v105, v76, v35
	v_sub_f32_e32 v107, v77, v26
	v_fma_f32 v102, -0.5, v102, v62
	v_add_f32_e32 v103, v62, v38
	v_sub_f32_e32 v117, v59, v38
	v_sub_f32_e32 v118, v60, v82
	v_fmac_f32_e32 v62, -0.5, v116
	v_sub_f32_e32 v116, v76, v77
	v_fmac_f32_e32 v8, 0x3f167918, v111
	v_fmac_f32_e32 v52, 0x3e9e377a, v17
	v_fma_f32 v30, -0.5, v30, v7
	v_add_f32_e32 v114, v7, v63
	v_fmac_f32_e32 v7, -0.5, v40
	v_sub_f32_e32 v40, v65, v63
	v_sub_f32_e32 v106, v68, v66
	v_fma_f32 v101, -0.5, v101, v55
	v_add_f32_e32 v115, v55, v35
	v_fmac_f32_e32 v55, -0.5, v104
	v_add_f32_e32 v119, v105, v107
	v_add_f32_e32 v117, v117, v118
	v_sub_f32_e32 v118, v59, v60
	v_fmamk_f32 v105, v116, 0xbf737871, v62
	v_fmac_f32_e32 v62, 0x3f737871, v116
	v_sub_f32_e32 v120, v35, v26
	v_mul_f32_e32 v107, 0xbf737871, v50
	v_fmac_f32_e32 v8, 0x3e9e377a, v11
	v_sub_f32_e32 v121, v61, v49
	v_fmamk_f32 v104, v118, 0x3f737871, v55
	v_fmac_f32_e32 v55, 0xbf737871, v118
	v_sub_f32_e32 v122, v38, v82
	v_fmac_f32_e32 v62, 0xbf167918, v120
	v_add_f32_e32 v125, v40, v106
	v_fmac_f32_e32 v107, 0xbe9e377a, v52
	v_add_f32_e32 v106, v23, v9
	v_fmamk_f32 v123, v121, 0x3f737871, v7
	v_fmac_f32_e32 v7, 0xbf737871, v121
	v_sub_f32_e32 v124, v58, v43
	v_fmac_f32_e32 v55, 0x3f167918, v122
	v_fmac_f32_e32 v62, 0x3e9e377a, v117
	v_add_f32_e32 v127, v8, v107
	v_sub_f32_e32 v8, v8, v107
	v_fma_f32 v128, -0.5, v106, v6
	v_sub_f32_e32 v106, v22, v23
	v_sub_f32_e32 v107, v24, v9
	;; [unrolled: 1-line block ×4, first 2 shown]
	v_fmac_f32_e32 v7, 0x3f167918, v124
	v_fmac_f32_e32 v55, 0x3e9e377a, v119
	v_mul_f32_e32 v40, 0xbf737871, v62
	v_add_f32_e32 v132, v106, v107
	v_add_f32_e32 v130, v130, v131
	v_sub_f32_e32 v106, v79, v33
	v_sub_f32_e32 v131, v25, v34
	v_fmac_f32_e32 v7, 0x3e9e377a, v125
	v_fmac_f32_e32 v40, 0xbe9e377a, v55
	v_mov_b32_e32 v133, 0x78
	v_add_f32_e32 v107, v33, v34
	v_add_f32_e32 v131, v106, v131
	;; [unrolled: 1-line block ×4, first 2 shown]
	v_sub_f32_e32 v7, v7, v40
	v_mov_b32_e32 v40, 2
	v_mul_u32_u24_sdwa v71, v71, v133 dst_sel:DWORD dst_unused:UNUSED_PAD src0_sel:WORD_0 src1_sel:DWORD
	v_add_f32_e32 v106, v106, v81
	v_add_f32_e32 v134, v81, v80
	v_sub_f32_e32 v136, v78, v27
	v_lshlrev_b32_sdwa v73, v40, v73 dst_sel:DWORD dst_unused:UNUSED_PAD src0_sel:DWORD src1_sel:BYTE_0
	v_sub_f32_e32 v139, v81, v80
	v_add_f32_e32 v106, v106, v80
	v_add_f32_e32 v149, v78, v27
	v_sub_f32_e32 v78, v81, v78
	v_add3_u32 v71, 0, v71, v73
	v_fma_f32 v135, -0.5, v107, v64
	v_add_f32_e32 v73, v106, v27
	v_sub_f32_e32 v27, v80, v27
	v_add_f32_e32 v80, v79, v25
	v_sub_f32_e32 v146, v23, v22
	v_sub_f32_e32 v147, v9, v24
	v_add_f32_e32 v126, v22, v24
	v_add_f32_e32 v27, v78, v27
	;; [unrolled: 1-line block ×3, first 2 shown]
	v_fmac_f32_e32 v64, -0.5, v80
	v_fma_f32 v134, -0.5, v134, v57
	v_sub_f32_e32 v137, v79, v25
	v_fmamk_f32 v138, v136, 0x3f737871, v135
	v_sub_f32_e32 v142, v33, v34
	v_add_f32_e32 v146, v146, v147
	v_fmac_f32_e32 v57, -0.5, v149
	v_sub_f32_e32 v79, v33, v79
	v_sub_f32_e32 v80, v34, v25
	v_fmamk_f32 v147, v139, 0xbf737871, v64
	v_fmac_f32_e32 v64, 0x3f737871, v139
	v_fmac_f32_e32 v135, 0xbf737871, v136
	v_fma_f32 v126, -0.5, v126, v6
	v_add_f32_e32 v6, v6, v22
	v_sub_f32_e32 v140, v20, v70
	v_fmamk_f32 v141, v137, 0xbf737871, v134
	v_fmac_f32_e32 v138, 0x3f167918, v139
	v_sub_f32_e32 v144, v21, v69
	v_fmamk_f32 v81, v142, 0x3f737871, v57
	v_fmac_f32_e32 v57, 0xbf737871, v142
	v_add_f32_e32 v79, v79, v80
	v_fmac_f32_e32 v147, 0x3f167918, v136
	v_fmac_f32_e32 v64, 0xbf167918, v136
	;; [unrolled: 1-line block ×4, first 2 shown]
	v_add_f32_e32 v6, v6, v23
	v_fmamk_f32 v143, v140, 0xbf737871, v128
	v_fmac_f32_e32 v141, 0xbf167918, v142
	v_fmac_f32_e32 v138, 0x3e9e377a, v131
	v_fmamk_f32 v148, v144, 0x3f737871, v126
	v_fmac_f32_e32 v126, 0xbf737871, v144
	v_fmac_f32_e32 v81, 0xbf167918, v137
	;; [unrolled: 1-line block ×8, first 2 shown]
	v_add_f32_e32 v6, v6, v9
	v_fmac_f32_e32 v143, 0xbf167918, v144
	v_fmac_f32_e32 v141, 0x3e9e377a, v130
	v_mul_f32_e32 v145, 0xbf167918, v138
	v_fmac_f32_e32 v148, 0xbf167918, v140
	v_fmac_f32_e32 v126, 0x3f167918, v140
	;; [unrolled: 1-line block ×4, first 2 shown]
	v_mul_f32_e32 v27, 0xbf737871, v147
	v_mul_f32_e32 v79, 0xbf737871, v64
	v_fmac_f32_e32 v128, 0x3f167918, v144
	v_fmac_f32_e32 v134, 0x3e9e377a, v130
	v_mul_f32_e32 v80, 0xbf167918, v135
	v_add_f32_e32 v6, v6, v24
	v_fmac_f32_e32 v143, 0x3e9e377a, v132
	v_fmac_f32_e32 v145, 0x3f4f1bbd, v141
	;; [unrolled: 1-line block ×8, first 2 shown]
	v_add_f32_e32 v150, v6, v73
	v_add_f32_e32 v130, v143, v145
	;; [unrolled: 1-line block ×4, first 2 shown]
	v_sub_f32_e32 v6, v6, v73
	v_add_f32_e32 v73, v128, v80
	v_sub_f32_e32 v136, v143, v145
	v_sub_f32_e32 v27, v148, v27
	ds_read2_b32 v[106:107], v75 offset1:90
	s_waitcnt lgkmcnt(0)
	s_barrier
	buffer_gl0_inv
	ds_write2_b32 v71, v150, v130 offset1:3
	ds_write2_b32 v71, v131, v132 offset0:6 offset1:9
	ds_write2_b32 v71, v73, v6 offset0:12 offset1:15
	ds_write2_b32 v71, v136, v27 offset0:18 offset1:21
	v_sub_f32_e32 v6, v126, v79
	v_add_f32_e32 v27, v115, v76
	v_sub_f32_e32 v73, v128, v80
	v_sub_f32_e32 v35, v35, v76
	;; [unrolled: 1-line block ×4, first 2 shown]
	v_add_f32_e32 v27, v27, v77
	v_sub_f32_e32 v77, v82, v60
	ds_write2_b32 v71, v6, v73 offset0:24 offset1:27
	v_fmamk_f32 v73, v120, 0x3f737871, v102
	v_fmac_f32_e32 v102, 0xbf737871, v120
	v_add_f32_e32 v26, v27, v26
	v_add_f32_e32 v27, v35, v76
	;; [unrolled: 1-line block ×3, first 2 shown]
	v_fmamk_f32 v77, v122, 0xbf737871, v101
	v_fmac_f32_e32 v73, 0x3f167918, v116
	v_fmac_f32_e32 v105, 0x3f167918, v120
	;; [unrolled: 1-line block ×4, first 2 shown]
	v_sub_f32_e32 v79, v63, v65
	v_sub_f32_e32 v80, v66, v68
	v_mul_u32_u24_sdwa v31, v31, v133 dst_sel:DWORD dst_unused:UNUSED_PAD src0_sel:WORD_0 src1_sel:DWORD
	v_add_f32_e32 v38, v114, v65
	v_fmamk_f32 v76, v124, 0xbf737871, v30
	v_lshlrev_b32_sdwa v32, v40, v32 dst_sel:DWORD dst_unused:UNUSED_PAD src0_sel:DWORD src1_sel:BYTE_0
	v_fmac_f32_e32 v77, 0xbf167918, v118
	v_fmac_f32_e32 v73, 0x3e9e377a, v35
	;; [unrolled: 1-line block ×7, first 2 shown]
	v_add_f32_e32 v6, v79, v80
	v_add_f32_e32 v38, v38, v68
	v_fmac_f32_e32 v76, 0xbf167918, v121
	v_add3_u32 v79, 0, v31, v32
	v_fmac_f32_e32 v77, 0x3e9e377a, v27
	v_mul_f32_e32 v32, 0xbf167918, v73
	v_fmac_f32_e32 v123, 0xbf167918, v124
	v_fmac_f32_e32 v104, 0x3e9e377a, v119
	v_mul_f32_e32 v35, 0xbf737871, v105
	v_fmac_f32_e32 v30, 0x3f167918, v121
	v_fmac_f32_e32 v101, 0x3e9e377a, v27
	v_mul_f32_e32 v27, 0xbf167918, v102
	v_add_f32_e32 v31, v38, v66
	v_fmac_f32_e32 v76, 0x3e9e377a, v6
	v_fmac_f32_e32 v32, 0x3f4f1bbd, v77
	;; [unrolled: 1-line block ×6, first 2 shown]
	v_add_f32_e32 v6, v31, v26
	v_add_f32_e32 v38, v76, v32
	;; [unrolled: 1-line block ×3, first 2 shown]
	v_sub_f32_e32 v32, v76, v32
	v_sub_f32_e32 v35, v123, v35
	v_sub_f32_e32 v26, v31, v26
	v_add_f32_e32 v31, v30, v27
	ds_write2_b32 v79, v6, v38 offset1:3
	ds_write2_b32 v79, v80, v129 offset0:6 offset1:9
	ds_write2_b32 v79, v31, v26 offset0:12 offset1:15
	v_add_f32_e32 v6, v16, v39
	ds_write2_b32 v79, v32, v35 offset0:18 offset1:21
	v_sub_f32_e32 v16, v53, v54
	v_sub_f32_e32 v26, v67, v56
	;; [unrolled: 1-line block ×5, first 2 shown]
	v_fmamk_f32 v72, v112, 0x3f737871, v85
	v_fmac_f32_e32 v85, 0xbf737871, v112
	v_add_f32_e32 v6, v6, v29
	v_sub_f32_e32 v29, v13, v29
	v_add_f32_e32 v16, v16, v26
	v_add_f32_e32 v26, v32, v35
	v_fmamk_f32 v74, v113, 0xbf737871, v83
	v_fmac_f32_e32 v72, 0x3f167918, v109
	v_fmac_f32_e32 v100, 0x3f167918, v112
	;; [unrolled: 1-line block ×4, first 2 shown]
	v_add_f32_e32 v6, v6, v13
	v_add_f32_e32 v13, v31, v29
	;; [unrolled: 1-line block ×3, first 2 shown]
	v_fmamk_f32 v29, v111, 0xbf737871, v10
	v_lshlrev_b32_sdwa v18, v40, v18 dst_sel:DWORD dst_unused:UNUSED_PAD src0_sel:DWORD src1_sel:WORD_0
	v_fmac_f32_e32 v74, 0xbf167918, v110
	v_fmac_f32_e32 v72, 0x3e9e377a, v26
	v_fmac_f32_e32 v87, 0xbf167918, v113
	v_fmac_f32_e32 v100, 0x3e9e377a, v28
	v_fmac_f32_e32 v10, 0x3f737871, v111
	v_fmac_f32_e32 v83, 0x3f167918, v110
	v_fmac_f32_e32 v85, 0x3e9e377a, v26
	v_add_f32_e32 v14, v14, v56
	v_fmac_f32_e32 v29, 0xbf167918, v108
	v_add3_u32 v80, 0, v19, v18
	v_fmac_f32_e32 v74, 0x3e9e377a, v13
	v_mul_f32_e32 v18, 0xbf167918, v72
	v_fmac_f32_e32 v15, 0xbf167918, v111
	v_fmac_f32_e32 v87, 0x3e9e377a, v17
	v_mul_f32_e32 v17, 0xbf737871, v100
	v_fmac_f32_e32 v10, 0x3f167918, v108
	v_fmac_f32_e32 v83, 0x3e9e377a, v13
	v_mul_f32_e32 v13, 0xbf167918, v85
	v_add_f32_e32 v14, v14, v67
	v_fmac_f32_e32 v29, 0x3e9e377a, v16
	v_fmac_f32_e32 v18, 0x3f4f1bbd, v74
	;; [unrolled: 1-line block ×6, first 2 shown]
	v_sub_f32_e32 v27, v30, v27
	v_add_f32_e32 v11, v14, v6
	v_add_f32_e32 v16, v29, v18
	;; [unrolled: 1-line block ×3, first 2 shown]
	v_sub_f32_e32 v6, v14, v6
	v_add_f32_e32 v14, v10, v13
	v_sub_f32_e32 v18, v29, v18
	v_sub_f32_e32 v15, v15, v17
	ds_write2_b32 v79, v7, v27 offset0:24 offset1:27
	ds_write2_b32 v80, v11, v16 offset1:3
	ds_write2_b32 v80, v19, v127 offset0:6 offset1:9
	ds_write2_b32 v80, v14, v6 offset0:12 offset1:15
	;; [unrolled: 1-line block ×3, first 2 shown]
	v_sub_f32_e32 v7, v10, v13
	v_add_f32_e32 v10, v78, v33
	v_add_f32_e32 v6, v21, v69
	v_add_f32_e32 v11, v106, v20
	v_sub_f32_e32 v14, v70, v69
	v_sub_f32_e32 v78, v23, v9
	v_add_f32_e32 v10, v10, v34
	v_fma_f32 v76, -0.5, v6, v106
	v_sub_f32_e32 v6, v20, v21
	v_add_f32_e32 v9, v11, v21
	v_sub_f32_e32 v13, v22, v24
	v_add_f32_e32 v111, v10, v25
	v_add_f32_e32 v10, v20, v70
	;; [unrolled: 1-line block ×4, first 2 shown]
	v_fmamk_f32 v108, v13, 0x3f737871, v76
	v_sub_f32_e32 v113, v21, v20
	v_fma_f32 v106, -0.5, v10, v106
	v_sub_f32_e32 v69, v69, v70
	v_add_f32_e32 v112, v6, v70
	v_fmac_f32_e32 v76, 0xbf737871, v13
	v_mul_f32_e32 v110, 0x3f4f1bbd, v138
	v_fmamk_f32 v70, v78, 0xbf737871, v106
	v_fmac_f32_e32 v106, 0x3f737871, v78
	v_fmac_f32_e32 v108, 0x3f167918, v78
	v_add_f32_e32 v69, v113, v69
	v_mul_f32_e32 v64, 0xbe9e377a, v64
	v_fmac_f32_e32 v70, 0x3f167918, v13
	v_fmac_f32_e32 v106, 0xbf167918, v13
	v_mul_f32_e32 v13, 0x3e9e377a, v147
	v_fmac_f32_e32 v76, 0xbf167918, v78
	v_mul_f32_e32 v78, 0xbf4f1bbd, v135
	v_fmac_f32_e32 v110, 0x3f167918, v141
	v_fmac_f32_e32 v108, 0x3e9e377a, v109
	;; [unrolled: 1-line block ×8, first 2 shown]
	v_add_f32_e32 v113, v112, v111
	v_add_f32_e32 v57, v108, v110
	;; [unrolled: 1-line block ×4, first 2 shown]
	v_sub_f32_e32 v109, v112, v111
	v_add_f32_e32 v111, v76, v78
	ds_write2_b32 v80, v8, v7 offset0:24 offset1:27
	s_waitcnt lgkmcnt(0)
	s_barrier
	buffer_gl0_inv
	ds_read2_b32 v[6:7], v75 offset1:90
	ds_read2_b32 v[8:9], v88 offset0:52 offset1:142
	ds_read2_b32 v[34:35], v90 offset0:28 offset1:118
	;; [unrolled: 1-line block ×14, first 2 shown]
	s_waitcnt lgkmcnt(0)
	s_barrier
	buffer_gl0_inv
	ds_write2_b32 v71, v113, v57 offset1:3
	ds_write2_b32 v71, v69, v81 offset0:6 offset1:9
	ds_write2_b32 v71, v111, v109 offset0:12 offset1:15
	v_add_f32_e32 v69, v61, v49
	v_sub_f32_e32 v13, v70, v13
	v_sub_f32_e32 v65, v65, v68
	v_add_f32_e32 v68, v58, v43
	v_sub_f32_e32 v70, v61, v58
	v_sub_f32_e32 v81, v49, v43
	;; [unrolled: 1-line block ×3, first 2 shown]
	v_fma_f32 v69, -0.5, v69, v107
	v_add_f32_e32 v106, v107, v58
	v_fmac_f32_e32 v107, -0.5, v68
	v_sub_f32_e32 v63, v63, v66
	v_add_f32_e32 v66, v44, v42
	v_add_f32_e32 v68, v70, v81
	;; [unrolled: 1-line block ×3, first 2 shown]
	v_sub_f32_e32 v54, v54, v56
	v_sub_f32_e32 v57, v108, v110
	v_fma_f32 v56, -0.5, v66, v4
	v_add_f32_e32 v66, v4, v5
	v_fmac_f32_e32 v4, -0.5, v70
	v_sub_f32_e32 v53, v53, v67
	v_sub_f32_e32 v67, v44, v5
	;; [unrolled: 1-line block ×3, first 2 shown]
	v_mul_f32_e32 v50, 0xbe9e377a, v50
	v_fmamk_f32 v108, v54, 0xbf737871, v4
	v_fmac_f32_e32 v4, 0x3f737871, v54
	v_fmamk_f32 v81, v65, 0xbf737871, v107
	v_add_f32_e32 v67, v67, v70
	v_fmac_f32_e32 v107, 0x3f737871, v65
	v_mul_f32_e32 v62, 0xbe9e377a, v62
	v_fmac_f32_e32 v4, 0xbf167918, v53
	v_fmac_f32_e32 v50, 0x3f737871, v52
	v_sub_f32_e32 v70, v76, v78
	v_fmac_f32_e32 v107, 0xbf167918, v63
	v_fmac_f32_e32 v62, 0x3f737871, v55
	;; [unrolled: 1-line block ×3, first 2 shown]
	ds_write2_b32 v71, v57, v13 offset0:18 offset1:21
	ds_write2_b32 v71, v64, v70 offset0:24 offset1:27
	v_sub_f32_e32 v57, v58, v61
	v_sub_f32_e32 v58, v43, v49
	v_fmac_f32_e32 v107, 0x3e9e377a, v68
	v_add_f32_e32 v55, v4, v50
	v_sub_f32_e32 v4, v4, v50
	v_add_f32_e32 v50, v106, v61
	v_fmamk_f32 v61, v63, 0x3f737871, v69
	v_fmac_f32_e32 v69, 0xbf737871, v63
	v_add_f32_e32 v57, v57, v58
	v_add_f32_e32 v13, v107, v62
	;; [unrolled: 1-line block ×4, first 2 shown]
	v_fmac_f32_e32 v61, 0x3f167918, v65
	v_fmac_f32_e32 v69, 0xbf167918, v65
	v_sub_f32_e32 v52, v107, v62
	v_fmac_f32_e32 v81, 0x3f167918, v63
	v_add_f32_e32 v50, v50, v60
	v_add_f32_e32 v43, v49, v43
	v_mul_f32_e32 v49, 0x3f4f1bbd, v73
	v_add_f32_e32 v62, v66, v44
	v_sub_f32_e32 v5, v5, v44
	v_sub_f32_e32 v44, v41, v42
	v_fmamk_f32 v63, v53, 0x3f737871, v56
	v_fmac_f32_e32 v56, 0xbf737871, v53
	v_add_f32_e32 v37, v86, v37
	v_fmac_f32_e32 v61, 0x3e9e377a, v57
	v_fmac_f32_e32 v69, 0x3e9e377a, v57
	v_mul_f32_e32 v57, 0x3e9e377a, v105
	v_mul_f32_e32 v58, 0xbf4f1bbd, v102
	v_add_f32_e32 v50, v50, v82
	v_fmac_f32_e32 v49, 0x3f167918, v77
	v_add_f32_e32 v5, v5, v44
	v_fmac_f32_e32 v63, 0x3f167918, v54
	v_fmac_f32_e32 v56, 0xbf167918, v54
	v_add_f32_e32 v36, v37, v36
	v_fmac_f32_e32 v81, 0x3e9e377a, v68
	;; [unrolled: 3-line block ×3, first 2 shown]
	v_add_f32_e32 v59, v43, v50
	v_sub_f32_e32 v43, v43, v50
	v_add_f32_e32 v50, v61, v49
	v_fmac_f32_e32 v63, 0x3e9e377a, v5
	v_fmac_f32_e32 v56, 0x3e9e377a, v5
	v_mul_f32_e32 v5, 0x3f4f1bbd, v72
	v_add_f32_e32 v12, v36, v12
	v_mul_lo_u16 v36, 0x89, v47
	v_add_f32_e32 v60, v81, v57
	v_fmac_f32_e32 v108, 0x3f167918, v53
	v_add_f32_e32 v37, v42, v41
	v_mul_f32_e32 v41, 0x3e9e377a, v100
	v_sub_f32_e32 v49, v61, v49
	v_add_f32_e32 v61, v69, v58
	v_fmac_f32_e32 v5, 0x3f167918, v74
	v_lshrrev_b16 v74, 12, v36
	ds_write2_b32 v79, v59, v50 offset1:3
	ds_write2_b32 v79, v60, v13 offset0:6 offset1:9
	ds_write2_b32 v79, v61, v43 offset0:12 offset1:15
	v_mul_lo_u16 v13, 0x89, v51
	v_fmac_f32_e32 v108, 0x3e9e377a, v67
	v_fmac_f32_e32 v41, 0x3f737871, v87
	v_sub_f32_e32 v57, v81, v57
	v_sub_f32_e32 v58, v69, v58
	v_mul_f32_e32 v42, 0xbf4f1bbd, v85
	v_add_f32_e32 v44, v37, v12
	v_sub_f32_e32 v12, v37, v12
	v_add_f32_e32 v37, v63, v5
	v_mul_lo_u16 v53, v74, 30
	v_mov_b32_e32 v43, 0x8889
	v_lshrrev_b16 v72, 12, v13
	v_add_f32_e32 v36, v108, v41
	v_fmac_f32_e32 v42, 0x3f167918, v83
	ds_write2_b32 v79, v49, v57 offset0:18 offset1:21
	v_sub_nc_u16 v76, v3, v53
	ds_write2_b32 v79, v52, v58 offset0:24 offset1:27
	ds_write2_b32 v80, v44, v37 offset1:3
	ds_write2_b32 v80, v36, v55 offset0:6 offset1:9
	v_mul_u32_u24_sdwa v36, v45, v43 dst_sel:DWORD dst_unused:UNUSED_PAD src0_sel:WORD_0 src1_sel:DWORD
	v_mul_lo_u16 v37, v72, 30
	v_add_f32_e32 v47, v56, v42
	v_mul_u32_u24_sdwa v13, v76, v48 dst_sel:DWORD dst_unused:UNUSED_PAD src0_sel:BYTE_0 src1_sel:DWORD
	v_sub_f32_e32 v5, v63, v5
	v_lshrrev_b32_e32 v62, 20, v36
	v_sub_nc_u16 v73, v46, v37
	v_sub_f32_e32 v41, v108, v41
	v_sub_f32_e32 v42, v56, v42
	ds_write2_b32 v80, v47, v12 offset0:12 offset1:15
	ds_write2_b32 v80, v5, v41 offset0:18 offset1:21
	;; [unrolled: 1-line block ×3, first 2 shown]
	v_lshlrev_b32_e32 v4, 3, v13
	v_mul_lo_u16 v5, v62, 30
	v_mul_u32_u24_sdwa v12, v73, v48 dst_sel:DWORD dst_unused:UNUSED_PAD src0_sel:BYTE_0 src1_sel:DWORD
	s_waitcnt lgkmcnt(0)
	s_barrier
	buffer_gl0_inv
	global_load_dwordx4 v[41:44], v4, s[8:9] offset:216
	v_sub_nc_u16 v63, v45, v5
	v_lshlrev_b32_e32 v5, 3, v12
	v_lshlrev_b32_sdwa v76, v40, v76 dst_sel:DWORD dst_unused:UNUSED_PAD src0_sel:DWORD src1_sel:BYTE_0
	v_lshlrev_b32_sdwa v73, v40, v73 dst_sel:DWORD dst_unused:UNUSED_PAD src0_sel:DWORD src1_sel:BYTE_0
	v_mul_u32_u24_sdwa v12, v63, v48 dst_sel:DWORD dst_unused:UNUSED_PAD src0_sel:WORD_0 src1_sel:DWORD
	global_load_dwordx4 v[47:50], v5, s[8:9] offset:216
	v_lshlrev_b32_e32 v36, 3, v12
	s_clause 0xc
	global_load_dwordx4 v[52:55], v36, s[8:9] offset:216
	global_load_dwordx4 v[77:80], v4, s[8:9] offset:232
	;; [unrolled: 1-line block ×10, first 2 shown]
	global_load_dwordx2 v[81:82], v4, s[8:9] offset:280
	global_load_dwordx2 v[12:13], v5, s[8:9] offset:280
	;; [unrolled: 1-line block ×3, first 2 shown]
	ds_read2_b32 v[4:5], v88 offset0:52 offset1:142
	ds_read2_b32 v[58:59], v90 offset0:28 offset1:118
	ds_read2_b32 v[64:65], v96 offset0:104 offset1:194
	ds_read2_b32 v[67:68], v92 offset0:80 offset1:170
	ds_read2_b32 v[85:86], v89 offset0:56 offset1:146
	ds_read2_b32 v[132:133], v84 offset0:132 offset1:222
	s_waitcnt vmcnt(14) lgkmcnt(5)
	v_mul_f32_e32 v57, v5, v42
	v_mul_f32_e32 v42, v9, v42
	s_waitcnt lgkmcnt(4)
	v_mul_f32_e32 v70, v58, v44
	v_mul_f32_e32 v44, v34, v44
	v_fmac_f32_e32 v57, v9, v41
	v_fma_f32 v61, v5, v41, -v42
	v_fmac_f32_e32 v70, v34, v43
	s_waitcnt vmcnt(13) lgkmcnt(3)
	v_mul_f32_e32 v42, v64, v48
	v_fma_f32 v66, v58, v43, -v44
	s_waitcnt vmcnt(12)
	v_mul_f32_e32 v43, v65, v53
	v_mul_f32_e32 v5, v38, v48
	v_mul_f32_e32 v9, v35, v50
	v_fmac_f32_e32 v42, v38, v47
	v_mul_f32_e32 v34, v39, v53
	v_fmac_f32_e32 v43, v39, v52
	ds_read2_b32 v[38:39], v91 offset0:108 offset1:198
	v_mul_f32_e32 v51, v59, v50
	s_waitcnt lgkmcnt(3)
	v_mul_f32_e32 v50, v67, v55
	v_fma_f32 v41, v59, v49, -v9
	s_waitcnt vmcnt(11) lgkmcnt(2)
	v_mul_f32_e32 v9, v85, v80
	v_fma_f32 v44, v64, v47, -v5
	v_fmac_f32_e32 v51, v35, v49
	v_fma_f32 v47, v65, v52, -v34
	v_mul_f32_e32 v5, v30, v55
	v_fmac_f32_e32 v50, v30, v54
	v_mul_f32_e32 v35, v68, v78
	v_mul_f32_e32 v30, v31, v78
	;; [unrolled: 1-line block ×3, first 2 shown]
	v_fmac_f32_e32 v9, v28, v79
	s_waitcnt vmcnt(10)
	v_mul_f32_e32 v28, v29, v103
	ds_read2_b32 v[52:53], v94 offset0:84 offset1:174
	ds_read2_b32 v[58:59], v98 offset0:160 offset1:250
	v_fma_f32 v5, v67, v54, -v5
	v_fmac_f32_e32 v35, v31, v77
	v_fma_f32 v34, v68, v77, -v30
	v_mul_f32_e32 v60, v86, v103
	s_waitcnt lgkmcnt(3)
	v_mul_f32_e32 v31, v132, v101
	v_mul_f32_e32 v30, v32, v101
	v_fma_f32 v49, v86, v102, -v28
	s_waitcnt vmcnt(9)
	v_mul_f32_e32 v28, v133, v105
	ds_read2_b32 v[67:68], v0 offset0:8 offset1:98
	v_fmac_f32_e32 v60, v29, v102
	v_fmac_f32_e32 v31, v32, v100
	v_fma_f32 v32, v132, v100, -v30
	v_mul_f32_e32 v29, v33, v105
	v_fmac_f32_e32 v28, v33, v104
	v_mul_f32_e32 v30, v24, v107
	s_waitcnt vmcnt(8) lgkmcnt(3)
	v_mul_f32_e32 v77, v39, v109
	v_mul_f32_e32 v33, v25, v109
	v_fma_f32 v69, v85, v79, -v48
	v_mul_f32_e32 v56, v38, v107
	v_fma_f32 v38, v38, v106, -v30
	v_fmac_f32_e32 v77, v25, v108
	v_fma_f32 v25, v39, v108, -v33
	v_mul_f32_e32 v30, v22, v111
	s_waitcnt vmcnt(7)
	v_mul_f32_e32 v39, v23, v115
	ds_read2_b32 v[78:79], v93 offset0:112 offset1:202
	v_fmac_f32_e32 v56, v24, v106
	s_waitcnt lgkmcnt(3)
	v_mul_f32_e32 v24, v52, v111
	v_mul_f32_e32 v65, v53, v115
	v_fma_f32 v71, v52, v110, -v30
	v_fma_f32 v54, v53, v114, -v39
	s_waitcnt vmcnt(6) lgkmcnt(2)
	v_mul_f32_e32 v30, v59, v117
	ds_read2_b32 v[52:53], v97 offset0:60 offset1:150
	v_fmac_f32_e32 v24, v22, v110
	v_fmac_f32_e32 v65, v23, v114
	v_mul_f32_e32 v33, v58, v113
	v_mul_f32_e32 v22, v26, v113
	;; [unrolled: 1-line block ×3, first 2 shown]
	v_fmac_f32_e32 v30, v27, v116
	s_waitcnt lgkmcnt(2)
	v_mul_f32_e32 v64, v67, v119
	s_waitcnt vmcnt(5)
	v_mul_f32_e32 v27, v68, v121
	ds_read2_b32 v[85:86], v95 offset0:36 offset1:126
	v_fmac_f32_e32 v33, v26, v112
	v_fma_f32 v55, v58, v112, -v22
	v_mul_f32_e32 v22, v14, v119
	v_mul_f32_e32 v26, v15, v121
	v_fmac_f32_e32 v64, v14, v118
	v_fmac_f32_e32 v27, v15, v120
	ds_read2_b32 v[14:15], v99 offset0:88 offset1:178
	v_fma_f32 v39, v59, v116, -v23
	s_waitcnt lgkmcnt(3)
	v_mul_f32_e32 v23, v78, v123
	v_fma_f32 v48, v67, v118, -v22
	v_fma_f32 v22, v68, v120, -v26
	v_mul_f32_e32 v26, v18, v123
	s_waitcnt vmcnt(4)
	v_mul_f32_e32 v68, v79, v127
	v_fmac_f32_e32 v23, v18, v122
	v_mul_f32_e32 v58, v19, v127
	v_mul_f32_e32 v59, v20, v125
	v_fma_f32 v18, v78, v122, -v26
	s_waitcnt lgkmcnt(2)
	v_mul_f32_e32 v26, v52, v125
	v_fmac_f32_e32 v68, v19, v126
	s_waitcnt vmcnt(3)
	v_mul_f32_e32 v19, v53, v129
	s_waitcnt lgkmcnt(1)
	v_mul_f32_e32 v67, v85, v131
	v_fma_f32 v59, v52, v124, -v59
	v_fmac_f32_e32 v26, v20, v124
	v_mul_f32_e32 v20, v21, v129
	v_fmac_f32_e32 v19, v21, v128
	s_waitcnt vmcnt(2)
	v_mul_f32_e32 v21, v86, v82
	v_mul_f32_e32 v78, v16, v131
	v_fmac_f32_e32 v67, v16, v130
	v_fma_f32 v52, v53, v128, -v20
	v_mul_f32_e32 v16, v17, v82
	v_fmac_f32_e32 v21, v17, v81
	s_waitcnt vmcnt(1) lgkmcnt(0)
	v_mul_f32_e32 v20, v14, v13
	s_waitcnt vmcnt(0)
	v_mul_f32_e32 v17, v15, v37
	v_mul_f32_e32 v37, v11, v37
	v_fma_f32 v29, v133, v104, -v29
	v_fma_f32 v53, v85, v130, -v78
	v_add_f32_e32 v78, v56, v64
	v_fmac_f32_e32 v20, v10, v12
	v_fmac_f32_e32 v17, v11, v36
	v_fma_f32 v36, v15, v36, -v37
	v_sub_f32_e32 v82, v56, v50
	v_sub_f32_e32 v83, v64, v67
	v_mul_f32_e32 v10, v10, v13
	v_fma_f32 v58, v79, v126, -v58
	v_fma_f32 v16, v86, v81, -v16
	v_add_f32_e32 v79, v50, v67
	v_fma_f32 v11, -0.5, v78, v8
	v_add_f32_e32 v78, v39, v52
	v_sub_f32_e32 v81, v30, v28
	v_sub_f32_e32 v85, v19, v17
	v_add_f32_e32 v86, v29, v36
	v_add_f32_e32 v13, v82, v83
	v_fma_f32 v82, v14, v12, -v10
	v_add_f32_e32 v37, v30, v19
	v_add_f32_e32 v15, v8, v50
	v_fmac_f32_e32 v8, -0.5, v79
	v_add_f32_e32 v80, v28, v17
	v_fma_f32 v78, -0.5, v78, v47
	v_add_f32_e32 v79, v47, v29
	v_sub_f32_e32 v87, v39, v29
	v_sub_f32_e32 v100, v52, v36
	v_fmac_f32_e32 v47, -0.5, v86
	v_sub_f32_e32 v104, v30, v19
	v_add_f32_e32 v105, v81, v85
	v_add_f32_e32 v83, v60, v65
	;; [unrolled: 1-line block ×5, first 2 shown]
	v_fma_f32 v37, -0.5, v37, v43
	v_add_f32_e32 v103, v43, v28
	v_fmac_f32_e32 v43, -0.5, v80
	v_add_f32_e32 v106, v87, v100
	v_sub_f32_e32 v107, v39, v52
	v_fmamk_f32 v80, v104, 0xbf737871, v47
	v_fmac_f32_e32 v47, 0x3f737871, v104
	v_sub_f32_e32 v108, v28, v17
	v_fma_f32 v12, -0.5, v83, v7
	v_fma_f32 v83, -0.5, v14, v42
	v_add_f32_e32 v14, v31, v20
	v_sub_f32_e32 v87, v33, v31
	v_sub_f32_e32 v100, v26, v20
	v_fma_f32 v85, -0.5, v85, v44
	v_add_f32_e32 v86, v44, v32
	v_sub_f32_e32 v116, v55, v32
	v_sub_f32_e32 v117, v59, v82
	v_fmac_f32_e32 v44, -0.5, v115
	v_sub_f32_e32 v115, v33, v26
	v_sub_f32_e32 v109, v38, v48
	v_fmamk_f32 v81, v107, 0x3f737871, v43
	v_fmac_f32_e32 v43, 0xbf737871, v107
	v_sub_f32_e32 v110, v29, v36
	v_fmac_f32_e32 v47, 0xbf167918, v108
	v_add_f32_e32 v10, v51, v68
	v_add_f32_e32 v114, v42, v31
	v_fmac_f32_e32 v42, -0.5, v14
	v_add_f32_e32 v14, v87, v100
	v_add_f32_e32 v116, v116, v117
	v_sub_f32_e32 v117, v55, v59
	v_fmamk_f32 v100, v115, 0xbf737871, v44
	v_fmac_f32_e32 v44, 0x3f737871, v115
	v_sub_f32_e32 v118, v31, v20
	v_fmamk_f32 v111, v109, 0x3f737871, v8
	v_fmac_f32_e32 v8, 0xbf737871, v109
	v_sub_f32_e32 v112, v5, v53
	v_fmac_f32_e32 v43, 0x3f167918, v110
	v_fmac_f32_e32 v47, 0x3e9e377a, v106
	v_add_f32_e32 v113, v7, v51
	v_fmac_f32_e32 v7, -0.5, v10
	v_sub_f32_e32 v119, v49, v54
	v_fmamk_f32 v87, v117, 0x3f737871, v42
	v_fmac_f32_e32 v42, 0xbf737871, v117
	v_sub_f32_e32 v120, v32, v82
	v_fmac_f32_e32 v44, 0xbf167918, v118
	v_fmac_f32_e32 v8, 0x3f167918, v112
	;; [unrolled: 1-line block ×3, first 2 shown]
	v_mul_f32_e32 v101, 0xbf737871, v47
	v_sub_f32_e32 v10, v60, v51
	v_sub_f32_e32 v102, v65, v68
	v_fmamk_f32 v121, v119, 0x3f737871, v7
	v_fmac_f32_e32 v7, 0xbf737871, v119
	v_sub_f32_e32 v122, v41, v58
	v_fmac_f32_e32 v42, 0x3f167918, v120
	v_fmac_f32_e32 v44, 0x3e9e377a, v116
	;; [unrolled: 1-line block ×4, first 2 shown]
	v_add_f32_e32 v10, v10, v102
	v_fmac_f32_e32 v7, 0x3f167918, v122
	v_fmac_f32_e32 v42, 0x3e9e377a, v14
	v_mul_f32_e32 v102, 0xbf737871, v44
	v_add_f32_e32 v123, v8, v101
	v_sub_f32_e32 v8, v8, v101
	v_fmac_f32_e32 v7, 0x3e9e377a, v10
	v_add_f32_e32 v101, v70, v23
	v_fmac_f32_e32 v102, 0xbe9e377a, v42
	v_sub_f32_e32 v129, v34, v25
	v_sub_f32_e32 v130, v16, v22
	;; [unrolled: 1-line block ×3, first 2 shown]
	v_fma_f32 v127, -0.5, v101, v6
	v_add_f32_e32 v128, v7, v102
	v_sub_f32_e32 v7, v7, v102
	v_sub_f32_e32 v101, v35, v77
	;; [unrolled: 1-line block ×4, first 2 shown]
	v_add_f32_e32 v129, v129, v130
	v_add_f32_e32 v131, v25, v22
	v_sub_f32_e32 v133, v35, v21
	v_add_f32_e32 v132, v101, v102
	v_add_f32_e32 v101, v77, v27
	;; [unrolled: 1-line block ×3, first 2 shown]
	v_mov_b32_e32 v126, 0x4b0
	v_sub_f32_e32 v137, v77, v27
	v_add_f32_e32 v146, v35, v21
	v_fma_f32 v130, -0.5, v101, v57
	v_add_f32_e32 v101, v57, v35
	v_mul_u32_u24_sdwa v74, v74, v126 dst_sel:DWORD dst_unused:UNUSED_PAD src0_sel:WORD_0 src1_sel:DWORD
	v_sub_f32_e32 v35, v77, v35
	v_fma_f32 v131, -0.5, v131, v61
	v_sub_f32_e32 v143, v9, v70
	v_add_f32_e32 v101, v101, v77
	v_add3_u32 v74, 0, v74, v76
	v_sub_f32_e32 v144, v24, v23
	v_add_f32_e32 v124, v9, v24
	v_sub_f32_e32 v135, v34, v16
	v_add_f32_e32 v101, v101, v27
	v_fmamk_f32 v136, v133, 0x3f737871, v131
	v_sub_f32_e32 v139, v25, v22
	v_add_f32_e32 v143, v143, v144
	v_fmac_f32_e32 v57, -0.5, v146
	v_add_f32_e32 v76, v101, v21
	v_sub_f32_e32 v21, v27, v21
	v_add_f32_e32 v27, v34, v16
	v_fmac_f32_e32 v131, 0xbf737871, v133
	v_fma_f32 v124, -0.5, v124, v6
	v_add_f32_e32 v6, v6, v70
	v_add_f32_e32 v21, v35, v21
	;; [unrolled: 1-line block ×3, first 2 shown]
	v_fmac_f32_e32 v61, -0.5, v27
	v_sub_f32_e32 v27, v25, v34
	v_sub_f32_e32 v34, v22, v16
	;; [unrolled: 1-line block ×3, first 2 shown]
	v_fmamk_f32 v138, v135, 0xbf737871, v130
	v_fmamk_f32 v144, v137, 0xbf737871, v61
	v_fmac_f32_e32 v61, 0x3f737871, v137
	v_fmac_f32_e32 v136, 0x3f167918, v137
	v_sub_f32_e32 v141, v69, v71
	v_fmamk_f32 v77, v139, 0x3f737871, v57
	v_fmac_f32_e32 v57, 0xbf737871, v139
	v_add_f32_e32 v27, v27, v34
	v_fmac_f32_e32 v144, 0x3f167918, v133
	v_fmac_f32_e32 v61, 0xbf167918, v133
	;; [unrolled: 1-line block ×4, first 2 shown]
	v_add_f32_e32 v6, v6, v9
	v_fmamk_f32 v140, v134, 0xbf737871, v124
	v_fmac_f32_e32 v138, 0xbf167918, v139
	v_fmac_f32_e32 v136, 0x3e9e377a, v129
	v_fmamk_f32 v145, v141, 0x3f737871, v127
	v_fmac_f32_e32 v127, 0xbf737871, v141
	v_fmac_f32_e32 v77, 0xbf167918, v135
	;; [unrolled: 1-line block ×8, first 2 shown]
	v_add_f32_e32 v6, v6, v24
	v_fmac_f32_e32 v140, 0xbf167918, v141
	v_fmac_f32_e32 v138, 0x3e9e377a, v132
	v_mul_f32_e32 v142, 0xbf167918, v136
	v_fmac_f32_e32 v145, 0xbf167918, v134
	v_fmac_f32_e32 v127, 0x3f167918, v134
	;; [unrolled: 1-line block ×4, first 2 shown]
	v_mul_f32_e32 v21, 0xbf737871, v144
	v_mul_f32_e32 v27, 0xbf737871, v61
	v_fmac_f32_e32 v124, 0x3f167918, v141
	v_fmac_f32_e32 v130, 0x3e9e377a, v132
	v_mul_f32_e32 v34, 0xbf167918, v131
	v_add_f32_e32 v6, v6, v23
	v_fmac_f32_e32 v140, 0x3e9e377a, v125
	v_fmac_f32_e32 v142, 0x3f4f1bbd, v138
	;; [unrolled: 1-line block ×8, first 2 shown]
	v_add_f32_e32 v147, v6, v76
	v_add_f32_e32 v125, v140, v142
	;; [unrolled: 1-line block ×4, first 2 shown]
	v_sub_f32_e32 v6, v6, v76
	v_add_f32_e32 v76, v124, v34
	v_sub_f32_e32 v133, v140, v142
	v_sub_f32_e32 v21, v145, v21
	ds_read2_b32 v[101:102], v75 offset1:90
	s_waitcnt lgkmcnt(0)
	s_barrier
	buffer_gl0_inv
	ds_write2_b32 v74, v147, v125 offset1:30
	ds_write2_b32 v74, v129, v132 offset0:60 offset1:90
	ds_write2_b32 v74, v76, v6 offset0:120 offset1:150
	;; [unrolled: 1-line block ×3, first 2 shown]
	v_add_f32_e32 v21, v114, v33
	v_sub_f32_e32 v31, v31, v33
	v_sub_f32_e32 v6, v127, v27
	;; [unrolled: 1-line block ×4, first 2 shown]
	v_add_f32_e32 v21, v21, v26
	v_sub_f32_e32 v26, v20, v26
	v_sub_f32_e32 v76, v68, v65
	v_sub_f32_e32 v32, v32, v55
	v_sub_f32_e32 v33, v82, v59
	v_add_f32_e32 v20, v21, v20
	v_add_f32_e32 v21, v31, v26
	v_mul_u32_u24_sdwa v31, v72, v126 dst_sel:DWORD dst_unused:UNUSED_PAD src0_sel:WORD_0 src1_sel:DWORD
	v_fmamk_f32 v72, v118, 0x3f737871, v85
	v_fmac_f32_e32 v85, 0xbf737871, v118
	v_add_f32_e32 v34, v34, v76
	v_add_f32_e32 v26, v32, v33
	v_add_f32_e32 v32, v113, v60
	v_fmamk_f32 v76, v120, 0xbf737871, v83
	v_fmac_f32_e32 v72, 0x3f167918, v115
	v_fmac_f32_e32 v100, 0x3f167918, v118
	;; [unrolled: 1-line block ×4, first 2 shown]
	v_fmamk_f32 v33, v122, 0xbf737871, v12
	v_add_f32_e32 v32, v32, v65
	v_fmac_f32_e32 v76, 0xbf167918, v117
	v_fmac_f32_e32 v72, 0x3e9e377a, v26
	;; [unrolled: 1-line block ×8, first 2 shown]
	v_add3_u32 v73, 0, v31, v73
	v_add_f32_e32 v31, v32, v68
	v_fmac_f32_e32 v76, 0x3e9e377a, v21
	v_mul_f32_e32 v32, 0xbf167918, v72
	v_fmac_f32_e32 v121, 0xbf167918, v122
	v_fmac_f32_e32 v87, 0x3e9e377a, v14
	v_mul_f32_e32 v14, 0xbf737871, v100
	v_fmac_f32_e32 v12, 0x3f167918, v119
	v_fmac_f32_e32 v83, 0x3e9e377a, v21
	v_mul_f32_e32 v21, 0xbf167918, v85
	v_fmac_f32_e32 v33, 0x3e9e377a, v34
	v_fmac_f32_e32 v32, 0x3f4f1bbd, v76
	v_fmac_f32_e32 v121, 0x3e9e377a, v10
	;; [unrolled: 1-line block ×5, first 2 shown]
	v_add_nc_u32_e32 v114, 0x200, v74
	v_add_f32_e32 v10, v31, v20
	v_add_f32_e32 v26, v33, v32
	;; [unrolled: 1-line block ×3, first 2 shown]
	v_sub_f32_e32 v20, v31, v20
	v_add_f32_e32 v31, v12, v21
	v_sub_f32_e32 v32, v33, v32
	v_sub_f32_e32 v14, v121, v14
	ds_write2_b32 v114, v6, v27 offset0:112 offset1:142
	ds_write2_b32 v73, v10, v26 offset1:30
	ds_write2_b32 v73, v34, v128 offset0:60 offset1:90
	ds_write2_b32 v73, v31, v20 offset0:120 offset1:150
	;; [unrolled: 1-line block ×3, first 2 shown]
	v_add_f32_e32 v6, v103, v30
	v_sub_f32_e32 v10, v12, v21
	v_sub_f32_e32 v12, v50, v56
	;; [unrolled: 1-line block ×4, first 2 shown]
	v_add_f32_e32 v6, v6, v19
	v_sub_f32_e32 v19, v17, v19
	v_sub_f32_e32 v21, v29, v39
	;; [unrolled: 1-line block ×3, first 2 shown]
	v_add_f32_e32 v12, v12, v14
	v_add_f32_e32 v6, v6, v17
	;; [unrolled: 1-line block ×3, first 2 shown]
	v_mul_u32_u24_e32 v19, 0x4b0, v62
	v_fmamk_f32 v62, v108, 0x3f737871, v78
	v_fmac_f32_e32 v78, 0xbf737871, v108
	v_add_f32_e32 v17, v21, v26
	v_fmamk_f32 v113, v110, 0xbf737871, v37
	v_fmac_f32_e32 v80, 0x3f167918, v108
	v_fmac_f32_e32 v62, 0x3f167918, v104
	;; [unrolled: 1-line block ×4, first 2 shown]
	v_add_f32_e32 v15, v15, v56
	v_fmamk_f32 v20, v112, 0xbf737871, v11
	v_lshlrev_b32_sdwa v21, v40, v63 dst_sel:DWORD dst_unused:UNUSED_PAD src0_sel:DWORD src1_sel:WORD_0
	v_fmac_f32_e32 v113, 0xbf167918, v107
	v_fmac_f32_e32 v62, 0x3e9e377a, v17
	;; [unrolled: 1-line block ×7, first 2 shown]
	v_add_f32_e32 v15, v15, v64
	v_fmac_f32_e32 v20, 0xbf167918, v109
	v_add3_u32 v63, 0, v19, v21
	v_fmac_f32_e32 v113, 0x3e9e377a, v14
	v_mul_f32_e32 v19, 0xbf167918, v62
	v_fmac_f32_e32 v111, 0xbf167918, v112
	v_fmac_f32_e32 v81, 0x3e9e377a, v105
	v_mul_f32_e32 v17, 0xbf737871, v80
	v_fmac_f32_e32 v11, 0x3f167918, v109
	v_fmac_f32_e32 v37, 0x3e9e377a, v14
	v_mul_f32_e32 v14, 0xbf167918, v78
	v_add_f32_e32 v15, v15, v67
	v_fmac_f32_e32 v20, 0x3e9e377a, v12
	v_fmac_f32_e32 v19, 0x3f4f1bbd, v113
	;; [unrolled: 1-line block ×6, first 2 shown]
	v_add_nc_u32_e32 v103, 0x200, v73
	v_add_f32_e32 v12, v15, v6
	v_add_f32_e32 v13, v20, v19
	;; [unrolled: 1-line block ×3, first 2 shown]
	v_sub_f32_e32 v6, v15, v6
	v_add_f32_e32 v15, v11, v14
	v_sub_f32_e32 v19, v20, v19
	v_sub_f32_e32 v17, v111, v17
	ds_write2_b32 v103, v7, v10 offset0:112 offset1:142
	ds_write2_b32 v63, v12, v13 offset1:30
	ds_write2_b32 v63, v21, v123 offset0:60 offset1:90
	ds_write2_b32 v63, v15, v6 offset0:120 offset1:150
	;; [unrolled: 1-line block ×3, first 2 shown]
	v_sub_f32_e32 v6, v11, v14
	v_add_nc_u32_e32 v104, 0x200, v63
	v_add_f32_e32 v7, v69, v71
	v_add_f32_e32 v11, v101, v66
	v_sub_f32_e32 v70, v70, v23
	v_sub_f32_e32 v12, v18, v71
	ds_write2_b32 v104, v8, v6 offset0:112 offset1:142
	v_add_f32_e32 v6, v66, v18
	v_fma_f32 v105, -0.5, v7, v101
	v_sub_f32_e32 v7, v66, v69
	v_sub_f32_e32 v106, v9, v24
	v_add_f32_e32 v9, v11, v69
	v_fma_f32 v101, -0.5, v6, v101
	v_add_f32_e32 v10, v35, v25
	v_fmamk_f32 v107, v70, 0x3f737871, v105
	v_add_f32_e32 v108, v7, v12
	v_add_f32_e32 v7, v9, v71
	v_sub_f32_e32 v66, v69, v66
	v_sub_f32_e32 v69, v71, v18
	v_fmamk_f32 v71, v106, 0xbf737871, v101
	v_fmac_f32_e32 v101, 0x3f737871, v106
	v_fmac_f32_e32 v105, 0xbf737871, v70
	v_add_f32_e32 v10, v10, v22
	v_mul_f32_e32 v109, 0x3f4f1bbd, v136
	v_fmac_f32_e32 v107, 0x3f167918, v106
	v_add_f32_e32 v66, v66, v69
	v_fmac_f32_e32 v71, 0x3f167918, v70
	v_fmac_f32_e32 v101, 0xbf167918, v70
	v_mul_f32_e32 v70, 0x3e9e377a, v144
	v_mul_f32_e32 v61, 0xbe9e377a, v61
	v_fmac_f32_e32 v105, 0xbf167918, v106
	v_mul_f32_e32 v106, 0xbf4f1bbd, v131
	v_add_f32_e32 v110, v10, v16
	v_fmac_f32_e32 v109, 0x3f167918, v138
	v_add_f32_e32 v111, v7, v18
	v_fmac_f32_e32 v107, 0x3e9e377a, v108
	v_fmac_f32_e32 v71, 0x3e9e377a, v66
	v_fmac_f32_e32 v101, 0x3e9e377a, v66
	v_fmac_f32_e32 v70, 0x3f737871, v77
	v_fmac_f32_e32 v61, 0x3f737871, v57
	v_fmac_f32_e32 v105, 0x3e9e377a, v108
	v_fmac_f32_e32 v106, 0x3f167918, v130
	v_add_f32_e32 v69, v111, v110
	v_add_f32_e32 v57, v107, v109
	;; [unrolled: 1-line block ×4, first 2 shown]
	v_sub_f32_e32 v108, v111, v110
	v_add_f32_e32 v110, v105, v106
	s_waitcnt lgkmcnt(0)
	s_barrier
	buffer_gl0_inv
	ds_read2_b32 v[14:15], v75 offset1:90
	ds_read2_b32 v[34:35], v84 offset0:132 offset1:222
	ds_read2_b32 v[32:33], v0 offset0:8 offset1:98
	;; [unrolled: 1-line block ×14, first 2 shown]
	s_waitcnt lgkmcnt(0)
	s_barrier
	buffer_gl0_inv
	ds_write2_b32 v74, v69, v57 offset1:30
	ds_write2_b32 v74, v66, v77 offset0:60 offset1:90
	ds_write2_b32 v74, v110, v108 offset0:120 offset1:150
	v_add_f32_e32 v66, v49, v54
	v_sub_f32_e32 v69, v71, v70
	v_sub_f32_e32 v60, v60, v65
	v_add_f32_e32 v65, v41, v58
	v_sub_f32_e32 v70, v49, v41
	v_sub_f32_e32 v71, v54, v58
	v_fma_f32 v66, -0.5, v66, v102
	v_add_f32_e32 v77, v102, v41
	v_fmac_f32_e32 v102, -0.5, v65
	v_sub_f32_e32 v51, v51, v68
	v_add_f32_e32 v65, v38, v48
	v_add_f32_e32 v68, v70, v71
	;; [unrolled: 1-line block ×3, first 2 shown]
	v_sub_f32_e32 v56, v56, v64
	v_sub_f32_e32 v61, v101, v61
	v_fma_f32 v64, -0.5, v65, v4
	v_add_f32_e32 v65, v4, v5
	v_fmac_f32_e32 v4, -0.5, v70
	v_fmamk_f32 v71, v60, 0xbf737871, v102
	v_fmac_f32_e32 v102, 0x3f737871, v60
	v_sub_f32_e32 v50, v50, v67
	v_sub_f32_e32 v67, v38, v5
	;; [unrolled: 1-line block ×3, first 2 shown]
	v_fmamk_f32 v101, v56, 0xbf737871, v4
	v_fmac_f32_e32 v4, 0x3f737871, v56
	v_mul_f32_e32 v44, 0xbe9e377a, v44
	v_fmac_f32_e32 v102, 0xbf167918, v51
	v_add_f32_e32 v67, v67, v70
	v_mul_f32_e32 v47, 0xbe9e377a, v47
	v_fmac_f32_e32 v4, 0xbf167918, v50
	v_fmac_f32_e32 v44, 0x3f737871, v42
	;; [unrolled: 1-line block ×3, first 2 shown]
	v_sub_f32_e32 v57, v107, v109
	v_fmac_f32_e32 v47, 0x3f737871, v43
	v_fmac_f32_e32 v4, 0x3e9e377a, v67
	v_sub_f32_e32 v70, v105, v106
	v_add_f32_e32 v42, v102, v44
	v_sub_f32_e32 v43, v102, v44
	ds_write2_b32 v74, v57, v69 offset0:180 offset1:210
	ds_write2_b32 v114, v61, v70 offset0:112 offset1:142
	v_add_f32_e32 v44, v4, v47
	v_sub_f32_e32 v47, v4, v47
	v_add_f32_e32 v4, v77, v49
	v_sub_f32_e32 v41, v41, v49
	v_sub_f32_e32 v49, v58, v54
	v_fmamk_f32 v57, v51, 0x3f737871, v66
	v_fmac_f32_e32 v66, 0xbf737871, v51
	v_add_f32_e32 v4, v4, v54
	v_add_f32_e32 v54, v86, v55
	;; [unrolled: 1-line block ×3, first 2 shown]
	v_fmac_f32_e32 v57, 0x3f167918, v60
	v_fmac_f32_e32 v66, 0xbf167918, v60
	v_sub_f32_e32 v5, v5, v38
	v_add_f32_e32 v49, v54, v59
	v_add_f32_e32 v59, v65, v38
	v_sub_f32_e32 v38, v53, v48
	v_fmamk_f32 v60, v50, 0x3f737871, v64
	v_fmac_f32_e32 v64, 0xbf737871, v50
	v_fmac_f32_e32 v57, 0x3e9e377a, v41
	;; [unrolled: 1-line block ×3, first 2 shown]
	v_mul_f32_e32 v41, 0x3f4f1bbd, v72
	v_add_f32_e32 v5, v5, v38
	v_fmac_f32_e32 v60, 0x3f167918, v56
	v_fmac_f32_e32 v64, 0xbf167918, v56
	;; [unrolled: 1-line block ×3, first 2 shown]
	v_mul_f32_e32 v51, 0x3e9e377a, v100
	v_add_f32_e32 v39, v79, v39
	v_add_f32_e32 v48, v59, v48
	;; [unrolled: 1-line block ×3, first 2 shown]
	v_mul_f32_e32 v54, 0xbf4f1bbd, v85
	v_add_f32_e32 v49, v49, v82
	v_fmac_f32_e32 v41, 0x3f167918, v76
	v_fmac_f32_e32 v101, 0x3f167918, v50
	;; [unrolled: 1-line block ×4, first 2 shown]
	v_mul_f32_e32 v5, 0x3e9e377a, v80
	v_fmac_f32_e32 v71, 0x3e9e377a, v68
	v_fmac_f32_e32 v51, 0x3f737871, v87
	v_add_f32_e32 v38, v39, v52
	v_add_f32_e32 v39, v48, v53
	v_mul_f32_e32 v48, 0x3f4f1bbd, v62
	v_fmac_f32_e32 v54, 0x3f167918, v83
	v_add_f32_e32 v55, v4, v49
	v_sub_f32_e32 v49, v4, v49
	v_add_f32_e32 v4, v57, v41
	v_fmac_f32_e32 v101, 0x3e9e377a, v67
	v_fmac_f32_e32 v5, 0x3f737871, v81
	v_sub_f32_e32 v41, v57, v41
	v_add_f32_e32 v57, v71, v51
	v_add_f32_e32 v36, v38, v36
	v_mul_f32_e32 v38, 0xbf4f1bbd, v78
	v_fmac_f32_e32 v48, 0x3f167918, v113
	v_add_f32_e32 v58, v66, v54
	v_add_f32_e32 v52, v101, v5
	v_sub_f32_e32 v56, v101, v5
	ds_write2_b32 v73, v55, v4 offset1:30
	ds_write2_b32 v73, v57, v42 offset0:60 offset1:90
	v_lshlrev_b32_e32 v4, 1, v3
	v_mov_b32_e32 v5, 0
	v_sub_f32_e32 v51, v71, v51
	v_sub_f32_e32 v54, v66, v54
	v_fmac_f32_e32 v38, 0x3f167918, v37
	v_add_f32_e32 v50, v39, v36
	v_add_f32_e32 v37, v60, v48
	v_sub_f32_e32 v39, v39, v36
	ds_write2_b32 v73, v58, v49 offset0:120 offset1:150
	ds_write2_b32 v73, v41, v51 offset0:180 offset1:210
	;; [unrolled: 1-line block ×3, first 2 shown]
	ds_write2_b32 v63, v50, v37 offset1:30
	v_lshlrev_b64 v[36:37], 3, v[4:5]
	v_add_f32_e32 v53, v64, v38
	v_sub_f32_e32 v48, v60, v48
	v_lshlrev_b32_e32 v42, 1, v46
	v_mov_b32_e32 v43, v5
	v_sub_f32_e32 v38, v64, v38
	ds_write2_b32 v63, v52, v44 offset0:60 offset1:90
	ds_write2_b32 v63, v53, v39 offset0:120 offset1:150
	;; [unrolled: 1-line block ×4, first 2 shown]
	v_add_co_u32 v39, s0, s8, v36
	v_add_co_ci_u32_e64 v41, s0, s9, v37, s0
	v_lshlrev_b64 v[36:37], 3, v[42:43]
	v_add_co_u32 v42, s0, 0x800, v39
	v_add_co_ci_u32_e64 v43, s0, 0, v41, s0
	v_add_nc_u32_e32 v38, 0x10e, v3
	v_add_co_u32 v44, s0, s8, v36
	v_add_co_ci_u32_e64 v46, s0, s9, v37, s0
	v_subrev_nc_u32_e32 v47, 30, v3
	v_add_co_u32 v53, s0, 0x800, v44
	v_add_co_ci_u32_e64 v54, s0, 0, v46, s0
	v_cmp_gt_u32_e64 s0, 30, v3
	v_lshlrev_b32_e32 v36, 1, v45
	v_mov_b32_e32 v37, v5
	v_mov_b32_e32 v58, v5
	s_waitcnt lgkmcnt(0)
	v_cndmask_b32_e64 v48, v47, v38, s0
	s_barrier
	v_lshlrev_b64 v[36:37], 3, v[36:37]
	buffer_gl0_inv
	s_clause 0x1
	global_load_dwordx4 v[49:52], v[42:43], off offset:328
	global_load_dwordx4 v[53:56], v[53:54], off offset:328
	v_lshlrev_b32_e32 v57, 1, v48
	v_add_nc_u32_e32 v45, 0x21c, v3
	v_mov_b32_e32 v73, 0x6d3b
	v_add_co_u32 v42, s0, s8, v36
	v_add_co_ci_u32_e64 v43, s0, s9, v37, s0
	v_lshlrev_b64 v[36:37], 3, v[57:58]
	v_add_co_u32 v57, s0, 0x800, v42
	v_add_co_ci_u32_e64 v58, s0, 0, v43, s0
	v_lshrrev_b16 v65, 2, v45
	v_add_co_u32 v47, s0, s8, v36
	v_add_co_ci_u32_e64 v59, s0, s9, v37, s0
	v_add_nc_u32_e32 v36, 0x78, v4
	v_mov_b32_e32 v37, v5
	v_add_co_u32 v61, s0, 0x800, v47
	v_add_nc_u32_e32 v47, 0x276, v3
	v_add_nc_u32_e32 v4, 0x12c, v4
	v_lshlrev_b64 v[36:37], 3, v[36:37]
	v_mul_u32_u24_sdwa v67, v65, v73 dst_sel:DWORD dst_unused:UNUSED_PAD src0_sel:WORD_0 src1_sel:DWORD
	v_add_co_ci_u32_e64 v62, s0, 0, v59, s0
	v_lshrrev_b16 v68, 2, v47
	v_lshlrev_b64 v[65:66], 3, v[4:5]
	v_add_co_u32 v36, s0, s8, v36
	v_add_co_ci_u32_e64 v37, s0, s9, v37, s0
	v_lshrrev_b32_e32 v4, 21, v67
	v_mul_u32_u24_sdwa v69, v68, v73 dst_sel:DWORD dst_unused:UNUSED_PAD src0_sel:WORD_0 src1_sel:DWORD
	v_add_co_u32 v67, s0, 0x800, v36
	v_add_co_ci_u32_e64 v68, s0, 0, v37, s0
	v_mul_lo_u16 v36, 0x12c, v4
	v_lshrrev_b32_e32 v69, 21, v69
	v_add_nc_u32_e32 v37, 0x2d0, v3
	v_add_co_u32 v65, s0, s8, v65
	v_sub_nc_u16 v87, v45, v36
	v_mov_b32_e32 v36, 4
	v_mul_lo_u16 v71, 0x12c, v69
	v_lshrrev_b16 v72, 2, v37
	v_add_co_ci_u32_e64 v66, s0, s9, v66, s0
	v_lshlrev_b32_sdwa v74, v36, v87 dst_sel:DWORD dst_unused:UNUSED_PAD src0_sel:DWORD src1_sel:WORD_0
	v_add_nc_u32_e32 v36, 0x32a, v3
	v_sub_nc_u16 v76, v47, v71
	v_mul_u32_u24_sdwa v77, v72, v73 dst_sel:DWORD dst_unused:UNUSED_PAD src0_sel:WORD_0 src1_sel:DWORD
	v_add_co_u32 v69, s0, 0x800, v65
	v_lshrrev_b16 v78, 2, v36
	v_and_b32_e32 v112, 0xffff, v76
	v_lshrrev_b32_e32 v76, 21, v77
	s_clause 0x1
	global_load_dwordx4 v[57:60], v[57:58], off offset:328
	global_load_dwordx4 v[61:64], v[61:62], off offset:328
	v_add_co_ci_u32_e64 v70, s0, 0, v66, s0
	v_add_co_u32 v74, s0, s8, v74
	v_add_co_ci_u32_e64 v77, null, s9, 0, s0
	v_mul_u32_u24_sdwa v78, v78, v73 dst_sel:DWORD dst_unused:UNUSED_PAD src0_sel:WORD_0 src1_sel:DWORD
	v_mul_lo_u16 v76, 0x12c, v76
	v_add_co_u32 v73, s0, 0x800, v74
	v_lshlrev_b32_e32 v79, 4, v112
	v_add_co_ci_u32_e64 v74, s0, 0, v77, s0
	v_lshrrev_b32_e32 v77, 21, v78
	v_sub_nc_u16 v76, v37, v76
	s_clause 0x1
	global_load_dwordx4 v[65:68], v[67:68], off offset:328
	global_load_dwordx4 v[69:72], v[69:70], off offset:328
	v_add_co_u32 v78, s0, s8, v79
	v_mul_lo_u16 v77, 0x12c, v77
	v_and_b32_e32 v113, 0xffff, v76
	v_add_co_ci_u32_e64 v79, null, s9, 0, s0
	v_add_co_u32 v80, s0, 0x800, v78
	v_sub_nc_u16 v85, v36, v77
	v_lshlrev_b32_e32 v86, 4, v113
	v_add_co_ci_u32_e64 v81, s0, 0, v79, s0
	s_clause 0x1
	global_load_dwordx4 v[76:79], v[73:74], off offset:328
	global_load_dwordx4 v[80:83], v[80:81], off offset:328
	v_and_b32_e32 v114, 0xffff, v85
	v_add_co_u32 v73, s0, s8, v86
	v_add_co_ci_u32_e64 v74, null, s9, 0, s0
	v_lshlrev_b32_e32 v85, 4, v114
	v_add_co_u32 v73, s0, 0x800, v73
	v_add_co_ci_u32_e64 v74, s0, 0, v74, s0
	v_add_co_u32 v85, s0, s8, v85
	v_add_co_ci_u32_e64 v86, null, s9, 0, s0
	global_load_dwordx4 v[100:103], v[73:74], off offset:328
	v_add_co_u32 v73, s0, 0x800, v85
	v_add_co_ci_u32_e64 v74, s0, 0, v86, s0
	v_cmp_lt_u32_e64 s0, 29, v3
	v_mul_u32_u24_e32 v4, 0xe10, v4
	global_load_dwordx4 v[104:107], v[73:74], off offset:328
	ds_read2_b32 v[73:74], v84 offset0:132 offset1:222
	ds_read2_b32 v[85:86], v0 offset0:8 offset1:98
	;; [unrolled: 1-line block ×4, first 2 shown]
	s_waitcnt vmcnt(9) lgkmcnt(2)
	v_mul_f32_e32 v116, v85, v52
	v_mul_f32_e32 v115, v73, v50
	;; [unrolled: 1-line block ×4, first 2 shown]
	s_waitcnt vmcnt(8)
	v_mul_f32_e32 v117, v74, v54
	v_fmac_f32_e32 v116, v32, v51
	v_mul_f32_e32 v32, v35, v54
	v_mul_f32_e32 v118, v86, v56
	v_fmac_f32_e32 v115, v34, v49
	v_fma_f32 v73, v73, v49, -v50
	v_fmac_f32_e32 v117, v35, v53
	v_mul_f32_e32 v49, v33, v56
	ds_read2_b32 v[34:35], v91 offset0:108 offset1:198
	v_fma_f32 v74, v74, v53, -v32
	v_fmac_f32_e32 v118, v33, v55
	ds_read2_b32 v[32:33], v93 offset0:112 offset1:202
	v_fma_f32 v86, v86, v55, -v49
	v_fma_f32 v85, v85, v51, -v52
	ds_read2_b32 v[51:52], v95 offset0:36 offset1:126
	s_waitcnt vmcnt(7) lgkmcnt(4)
	v_mul_f32_e32 v119, v108, v58
	s_waitcnt lgkmcnt(3)
	v_mul_f32_e32 v120, v110, v60
	s_waitcnt vmcnt(6)
	v_mul_f32_e32 v121, v109, v62
	v_mul_f32_e32 v50, v29, v62
	;; [unrolled: 1-line block ×3, first 2 shown]
	v_fmac_f32_e32 v119, v28, v57
	v_mul_f32_e32 v28, v24, v60
	v_fmac_f32_e32 v120, v24, v59
	v_fmac_f32_e32 v121, v29, v61
	v_fma_f32 v61, v109, v61, -v50
	v_mul_f32_e32 v109, v111, v64
	v_mul_f32_e32 v24, v25, v64
	v_fma_f32 v62, v108, v57, -v49
	v_fma_f32 v108, v110, v59, -v28
	ds_read2_b32 v[28:29], v98 offset0:160 offset1:250
	v_fmac_f32_e32 v109, v25, v63
	s_waitcnt vmcnt(5) lgkmcnt(3)
	v_mul_f32_e32 v64, v34, v66
	v_mul_f32_e32 v49, v30, v66
	s_waitcnt lgkmcnt(2)
	v_mul_f32_e32 v66, v32, v68
	v_fma_f32 v63, v111, v63, -v24
	v_mul_f32_e32 v24, v26, v68
	s_waitcnt vmcnt(4)
	v_mul_f32_e32 v68, v35, v70
	v_fmac_f32_e32 v64, v30, v65
	v_fmac_f32_e32 v66, v26, v67
	v_mul_f32_e32 v26, v31, v70
	v_fma_f32 v67, v32, v67, -v24
	ds_read2_b32 v[24:25], v94 offset0:84 offset1:174
	v_mul_f32_e32 v70, v33, v72
	v_fmac_f32_e32 v68, v31, v69
	v_fma_f32 v69, v35, v69, -v26
	v_mul_f32_e32 v30, v27, v72
	v_fma_f32 v65, v34, v65, -v49
	v_fmac_f32_e32 v70, v27, v71
	ds_read2_b32 v[26:27], v99 offset0:88 offset1:178
	s_waitcnt vmcnt(3) lgkmcnt(2)
	v_mul_f32_e32 v50, v28, v77
	v_mul_f32_e32 v31, v20, v77
	v_mul_f32_e32 v72, v51, v79
	s_waitcnt vmcnt(2)
	v_mul_f32_e32 v77, v29, v81
	v_fma_f32 v71, v33, v71, -v30
	v_fmac_f32_e32 v50, v20, v76
	v_mul_f32_e32 v20, v21, v81
	v_mul_f32_e32 v30, v22, v79
	v_fmac_f32_e32 v72, v22, v78
	v_mul_f32_e32 v79, v52, v83
	v_mul_f32_e32 v22, v23, v83
	v_fmac_f32_e32 v77, v21, v80
	v_fma_f32 v80, v29, v80, -v20
	s_waitcnt vmcnt(1) lgkmcnt(1)
	v_mul_f32_e32 v49, v24, v101
	v_mul_f32_e32 v20, v18, v101
	v_fmac_f32_e32 v79, v23, v82
	v_fma_f32 v81, v52, v82, -v22
	v_add_f32_e32 v21, v15, v117
	v_fmac_f32_e32 v49, v18, v100
	v_mul_f32_e32 v18, v16, v103
	s_waitcnt lgkmcnt(0)
	v_mul_f32_e32 v82, v26, v103
	s_waitcnt vmcnt(0)
	v_mul_f32_e32 v83, v25, v105
	v_fma_f32 v100, v24, v100, -v20
	v_mul_f32_e32 v20, v19, v105
	v_fma_f32 v101, v26, v102, -v18
	v_add_f32_e32 v18, v117, v118
	v_fmac_f32_e32 v82, v16, v102
	v_fmac_f32_e32 v83, v19, v104
	v_add_f32_e32 v16, v115, v116
	v_mul_f32_e32 v19, v17, v107
	v_fmac_f32_e32 v15, -0.5, v18
	v_sub_f32_e32 v18, v74, v86
	v_fma_f32 v102, v25, v104, -v20
	v_mul_f32_e32 v103, v27, v107
	v_fma_f32 v16, -0.5, v16, v14
	v_sub_f32_e32 v20, v73, v85
	v_fma_f32 v104, v27, v106, -v19
	v_fmamk_f32 v19, v18, 0xbf5db3d7, v15
	v_fmac_f32_e32 v15, 0x3f5db3d7, v18
	v_add_f32_e32 v14, v14, v115
	v_add_f32_e32 v18, v119, v120
	v_fmac_f32_e32 v103, v17, v106
	v_fmamk_f32 v17, v20, 0xbf5db3d7, v16
	v_fmac_f32_e32 v16, 0x3f5db3d7, v20
	v_add_f32_e32 v20, v12, v119
	v_add_f32_e32 v14, v14, v116
	;; [unrolled: 1-line block ×3, first 2 shown]
	v_fma_f32 v12, -0.5, v18, v12
	v_sub_f32_e32 v18, v62, v108
	v_fma_f32 v78, v51, v78, -v30
	ds_read2_b32 v[51:52], v75 offset1:90
	ds_read2_b32 v[53:54], v88 offset0:52 offset1:142
	ds_read2_b32 v[55:56], v96 offset0:104 offset1:194
	;; [unrolled: 1-line block ×4, first 2 shown]
	s_waitcnt lgkmcnt(0)
	s_barrier
	buffer_gl0_inv
	v_add_f32_e32 v20, v20, v120
	ds_write2_b32 v75, v14, v21 offset1:90
	v_fmamk_f32 v14, v18, 0xbf5db3d7, v12
	ds_write2_b32 v90, v16, v15 offset0:88 offset1:178
	v_add_f32_e32 v15, v121, v109
	ds_write2_b32 v88, v20, v17 offset0:52 offset1:172
	v_cndmask_b32_e64 v17, 0, 0xe10, s0
	ds_write2_b32 v96, v19, v14 offset0:134 offset1:224
	v_lshlrev_b32_e32 v14, 2, v48
	v_add_f32_e32 v16, v13, v121
	v_fmac_f32_e32 v13, -0.5, v15
	v_sub_f32_e32 v15, v61, v63
	v_fmac_f32_e32 v12, 0x3f5db3d7, v18
	v_add_f32_e32 v19, v64, v66
	v_add3_u32 v48, 0, v17, v14
	v_add_f32_e32 v14, v68, v70
	v_add_f32_e32 v16, v16, v109
	v_fmamk_f32 v18, v15, 0xbf5db3d7, v13
	v_fmac_f32_e32 v13, 0x3f5db3d7, v15
	ds_write_b32 v75, v12 offset:3120
	v_fma_f32 v12, -0.5, v19, v10
	v_sub_f32_e32 v15, v65, v67
	v_add_f32_e32 v17, v11, v68
	v_fmac_f32_e32 v11, -0.5, v14
	v_sub_f32_e32 v14, v69, v71
	v_add_f32_e32 v10, v10, v64
	ds_write_b32 v48, v16
	v_add_f32_e32 v16, v50, v72
	v_fma_f32 v76, v28, v76, -v31
	ds_write_b32 v48, v13 offset:2400
	v_fmamk_f32 v13, v15, 0xbf5db3d7, v12
	v_fmac_f32_e32 v12, 0x3f5db3d7, v15
	v_fmamk_f32 v15, v14, 0xbf5db3d7, v11
	v_fmac_f32_e32 v11, 0x3f5db3d7, v14
	v_add_f32_e32 v10, v10, v66
	v_add_f32_e32 v14, v17, v70
	v_add_nc_u32_e32 v105, 0xe00, v75
	ds_write_b32 v48, v18 offset:1200
	ds_write2_b32 v94, v12, v11 offset0:24 offset1:114
	ds_write2_b32 v105, v10, v14 offset0:64 offset1:154
	ds_write2_b32 v91, v13, v15 offset0:108 offset1:198
	v_fma_f32 v10, -0.5, v16, v8
	v_lshlrev_b32_sdwa v14, v40, v87 dst_sel:DWORD dst_unused:UNUSED_PAD src0_sel:DWORD src1_sel:WORD_0
	v_add_f32_e32 v8, v8, v50
	v_sub_f32_e32 v11, v76, v78
	v_add_f32_e32 v12, v77, v79
	v_add_f32_e32 v13, v9, v77
	v_add3_u32 v4, 0, v4, v14
	v_add_f32_e32 v8, v8, v72
	v_fmamk_f32 v15, v11, 0xbf5db3d7, v10
	v_fmac_f32_e32 v9, -0.5, v12
	v_sub_f32_e32 v12, v80, v81
	v_fmac_f32_e32 v10, 0x3f5db3d7, v11
	ds_write_b32 v4, v8
	ds_write_b32 v4, v15 offset:1200
	ds_write_b32 v4, v10 offset:2400
	v_add_f32_e32 v8, v73, v85
	v_fmamk_f32 v11, v12, 0xbf5db3d7, v9
	v_fmac_f32_e32 v9, 0x3f5db3d7, v12
	v_lshl_add_u32 v40, v112, 2, 0
	v_add_f32_e32 v12, v83, v103
	v_fma_f32 v87, -0.5, v8, v51
	v_add_f32_e32 v8, v49, v82
	v_sub_f32_e32 v10, v115, v116
	ds_write_b32 v40, v9 offset:9600
	v_add_f32_e32 v9, v74, v86
	v_sub_f32_e32 v14, v100, v101
	v_fma_f32 v8, -0.5, v8, v6
	v_add_f32_e32 v15, v7, v83
	v_fmac_f32_e32 v7, -0.5, v12
	v_sub_f32_e32 v12, v102, v104
	v_add_f32_e32 v74, v52, v74
	v_fmac_f32_e32 v52, -0.5, v9
	v_sub_f32_e32 v9, v117, v118
	v_add_f32_e32 v6, v6, v49
	v_fmamk_f32 v106, v10, 0x3f5db3d7, v87
	v_fmac_f32_e32 v87, 0xbf5db3d7, v10
	v_fmamk_f32 v10, v14, 0xbf5db3d7, v8
	v_fmac_f32_e32 v8, 0x3f5db3d7, v14
	;; [unrolled: 2-line block ×3, first 2 shown]
	v_lshl_add_u32 v110, v113, 2, 0
	v_lshl_add_u32 v111, v114, 2, 0
	v_fmamk_f32 v107, v9, 0x3f5db3d7, v52
	v_fmac_f32_e32 v52, 0xbf5db3d7, v9
	v_add_f32_e32 v9, v13, v79
	v_add_f32_e32 v112, v62, v108
	;; [unrolled: 1-line block ×3, first 2 shown]
	ds_write_b32 v110, v8 offset:9600
	ds_write_b32 v111, v7 offset:9600
	v_add_f32_e32 v7, v15, v103
	ds_write_b32 v40, v9 offset:7200
	ds_write_b32 v40, v11 offset:8400
	;; [unrolled: 1-line block ×6, first 2 shown]
	s_waitcnt lgkmcnt(0)
	s_barrier
	buffer_gl0_inv
	ds_read2_b32 v[30:31], v75 offset1:90
	ds_read2_b32 v[32:33], v84 offset0:132 offset1:222
	ds_read2_b32 v[34:35], v0 offset0:8 offset1:98
	;; [unrolled: 1-line block ×14, first 2 shown]
	s_waitcnt lgkmcnt(0)
	s_barrier
	buffer_gl0_inv
	v_add_f32_e32 v51, v51, v73
	ds_write2_b32 v90, v87, v52 offset0:88 offset1:178
	v_add_f32_e32 v52, v53, v62
	v_sub_f32_e32 v62, v119, v120
	v_fma_f32 v53, -0.5, v112, v53
	v_add_f32_e32 v51, v51, v85
	v_add_f32_e32 v73, v61, v63
	;; [unrolled: 1-line block ×4, first 2 shown]
	v_fmamk_f32 v85, v62, 0x3f5db3d7, v53
	v_add_f32_e32 v61, v54, v61
	v_fmac_f32_e32 v53, 0xbf5db3d7, v62
	ds_write2_b32 v75, v51, v74 offset1:90
	ds_write2_b32 v88, v52, v106 offset0:52 offset1:172
	ds_write2_b32 v96, v107, v85 offset0:134 offset1:224
	v_fmac_f32_e32 v54, -0.5, v73
	v_add_f32_e32 v52, v61, v63
	ds_write_b32 v75, v53 offset:3120
	v_add_f32_e32 v53, v65, v67
	v_add_f32_e32 v61, v69, v71
	v_sub_f32_e32 v73, v121, v109
	v_add_f32_e32 v62, v55, v65
	v_add_f32_e32 v63, v56, v69
	v_sub_f32_e32 v64, v64, v66
	v_fma_f32 v53, -0.5, v53, v55
	v_fmac_f32_e32 v56, -0.5, v61
	v_sub_f32_e32 v55, v68, v70
	v_fmamk_f32 v51, v73, 0x3f5db3d7, v54
	v_fmac_f32_e32 v54, 0xbf5db3d7, v73
	v_add_f32_e32 v61, v62, v67
	v_add_f32_e32 v62, v63, v71
	v_fmamk_f32 v63, v64, 0x3f5db3d7, v53
	v_fmac_f32_e32 v53, 0xbf5db3d7, v64
	v_fmamk_f32 v64, v55, 0x3f5db3d7, v56
	v_fmac_f32_e32 v56, 0xbf5db3d7, v55
	ds_write_b32 v48, v54 offset:2400
	ds_write_b32 v48, v52
	ds_write_b32 v48, v51 offset:1200
	ds_write2_b32 v105, v61, v62 offset0:64 offset1:154
	ds_write2_b32 v94, v53, v56 offset0:24 offset1:114
	v_add_f32_e32 v48, v76, v78
	v_add_f32_e32 v51, v80, v81
	v_sub_f32_e32 v50, v50, v72
	v_add_f32_e32 v53, v58, v80
	v_add_f32_e32 v52, v57, v76
	v_fma_f32 v48, -0.5, v48, v57
	v_fmac_f32_e32 v58, -0.5, v51
	v_sub_f32_e32 v51, v77, v79
	v_add_f32_e32 v55, v100, v101
	v_add_f32_e32 v52, v52, v78
	v_fmamk_f32 v54, v50, 0x3f5db3d7, v48
	v_fmac_f32_e32 v48, 0xbf5db3d7, v50
	v_add_f32_e32 v50, v53, v81
	v_fmamk_f32 v53, v51, 0x3f5db3d7, v58
	v_fmac_f32_e32 v58, 0xbf5db3d7, v51
	v_add_f32_e32 v51, v102, v104
	v_add_f32_e32 v56, v59, v100
	v_sub_f32_e32 v49, v49, v82
	v_fma_f32 v55, -0.5, v55, v59
	v_add_f32_e32 v57, v60, v102
	v_fmac_f32_e32 v60, -0.5, v51
	v_sub_f32_e32 v51, v83, v103
	ds_write2_b32 v91, v63, v64 offset0:108 offset1:198
	v_add_f32_e32 v56, v56, v101
	v_fmamk_f32 v59, v49, 0x3f5db3d7, v55
	v_fmac_f32_e32 v55, 0xbf5db3d7, v49
	v_add_f32_e32 v49, v57, v104
	v_fmamk_f32 v57, v51, 0x3f5db3d7, v60
	v_fmac_f32_e32 v60, 0xbf5db3d7, v51
	ds_write_b32 v4, v52
	ds_write_b32 v4, v54 offset:1200
	ds_write_b32 v4, v48 offset:2400
	;; [unrolled: 1-line block ×11, first 2 shown]
	s_waitcnt lgkmcnt(0)
	s_barrier
	buffer_gl0_inv
	s_and_saveexec_b32 s0, vcc_lo
	s_cbranch_execz .LBB0_13
; %bb.12:
	v_add_co_u32 v48, vcc_lo, 0x1800, v44
	v_add_co_ci_u32_e32 v49, vcc_lo, 0, v46, vcc_lo
	v_add_co_u32 v39, vcc_lo, 0x1800, v39
	v_lshlrev_b32_e32 v4, 1, v36
	v_add_co_ci_u32_e32 v40, vcc_lo, 0, v41, vcc_lo
	s_clause 0x1
	global_load_dwordx4 v[48:51], v[48:49], off offset:1032
	global_load_dwordx4 v[52:55], v[39:40], off offset:1032
	v_lshlrev_b64 v[39:40], 3, v[4:5]
	v_lshlrev_b32_e32 v4, 1, v37
	v_add_nc_u32_e32 v115, 0x1c2, v3
	v_add_co_u32 v39, vcc_lo, s8, v39
	v_add_co_ci_u32_e32 v40, vcc_lo, s9, v40, vcc_lo
	v_lshlrev_b64 v[60:61], 3, v[4:5]
	v_add_co_u32 v39, vcc_lo, 0x1800, v39
	v_add_co_ci_u32_e32 v40, vcc_lo, 0, v40, vcc_lo
	v_lshlrev_b32_e32 v4, 1, v47
	global_load_dwordx4 v[56:59], v[39:40], off offset:1032
	v_add_co_u32 v39, vcc_lo, s8, v60
	v_add_co_ci_u32_e32 v40, vcc_lo, s9, v61, vcc_lo
	v_lshlrev_b64 v[46:47], 3, v[4:5]
	v_add_co_u32 v39, vcc_lo, 0x1800, v39
	v_add_co_ci_u32_e32 v40, vcc_lo, 0, v40, vcc_lo
	v_lshlrev_b32_e32 v4, 1, v45
	global_load_dwordx4 v[60:63], v[39:40], off offset:1032
	v_add_co_u32 v39, vcc_lo, s8, v46
	v_add_co_ci_u32_e32 v40, vcc_lo, s9, v47, vcc_lo
	v_lshlrev_b64 v[64:65], 3, v[4:5]
	v_add_co_u32 v39, vcc_lo, 0x1800, v39
	v_add_co_ci_u32_e32 v40, vcc_lo, 0, v40, vcc_lo
	v_add_co_u32 v4, vcc_lo, s8, v64
	global_load_dwordx4 v[44:47], v[39:40], off offset:1032
	v_add_co_ci_u32_e32 v40, vcc_lo, s9, v65, vcc_lo
	v_add_co_u32 v39, vcc_lo, 0x1800, v4
	v_lshlrev_b32_e32 v4, 1, v115
	v_add_co_ci_u32_e32 v40, vcc_lo, 0, v40, vcc_lo
	global_load_dwordx4 v[64:67], v[39:40], off offset:1032
	v_lshlrev_b64 v[39:40], 3, v[4:5]
	v_add_co_u32 v4, vcc_lo, s8, v39
	v_add_co_ci_u32_e32 v40, vcc_lo, s9, v40, vcc_lo
	v_add_co_u32 v39, vcc_lo, 0x1800, v4
	v_add_co_ci_u32_e32 v40, vcc_lo, 0, v40, vcc_lo
	v_lshl_add_u32 v4, v3, 1, 0x2d0
	global_load_dwordx4 v[68:71], v[39:40], off offset:1032
	v_lshlrev_b64 v[39:40], 3, v[4:5]
	v_add_co_u32 v4, vcc_lo, s8, v39
	v_add_co_ci_u32_e32 v40, vcc_lo, s9, v40, vcc_lo
	v_add_co_u32 v39, vcc_lo, 0x1800, v4
	v_lshlrev_b32_e32 v4, 1, v38
	v_add_co_ci_u32_e32 v40, vcc_lo, 0, v40, vcc_lo
	v_lshlrev_b64 v[72:73], 3, v[4:5]
	global_load_dwordx4 v[38:41], v[39:40], off offset:1032
	v_add_co_u32 v4, vcc_lo, s8, v72
	v_add_co_ci_u32_e32 v73, vcc_lo, s9, v73, vcc_lo
	v_add_co_u32 v72, vcc_lo, 0x1800, v4
	v_add_co_ci_u32_e32 v73, vcc_lo, 0, v73, vcc_lo
	;; [unrolled: 2-line block ×3, first 2 shown]
	s_clause 0x1
	global_load_dwordx4 v[76:79], v[72:73], off offset:1032
	global_load_dwordx4 v[80:83], v[42:43], off offset:1032
	v_mov_b32_e32 v4, v5
	ds_read2_b32 v[42:43], v92 offset0:80 offset1:170
	ds_read2_b32 v[72:73], v94 offset0:84 offset1:174
	;; [unrolled: 1-line block ×12, first 2 shown]
	ds_read2_b32 v[74:75], v75 offset1:90
	ds_read2_b32 v[107:108], v84 offset0:132 offset1:222
	ds_read2_b32 v[109:110], v0 offset0:8 offset1:98
	v_mul_hi_u32 v89, 0x91a2b3c5, v115
	v_lshlrev_b64 v[3:4], 3, v[3:4]
	v_add_co_u32 v98, vcc_lo, s2, v1
	v_add_co_ci_u32_e32 v127, vcc_lo, s3, v2, vcc_lo
	v_mul_hi_u32 v84, 0x91a2b3c5, v37
	v_add_co_u32 v0, vcc_lo, v98, v3
	v_add_co_ci_u32_e32 v1, vcc_lo, v127, v4, vcc_lo
	v_lshrrev_b32_e32 v4, 9, v89
	v_add_co_u32 v2, vcc_lo, 0x1800, v0
	v_add_co_ci_u32_e32 v3, vcc_lo, 0, v1, vcc_lo
	v_mad_u32_u24 v4, 0x708, v4, v115
	v_add_co_u32 v111, vcc_lo, 0x3800, v0
	v_add_co_ci_u32_e32 v112, vcc_lo, 0, v1, vcc_lo
	v_lshlrev_b64 v[117:118], 3, v[4:5]
	v_add_co_u32 v113, vcc_lo, 0x2000, v0
	v_add_co_ci_u32_e32 v114, vcc_lo, 0, v1, vcc_lo
	v_add_co_u32 v115, vcc_lo, 0x800, v0
	v_add_co_ci_u32_e32 v116, vcc_lo, 0, v1, vcc_lo
	;; [unrolled: 2-line block ×5, first 2 shown]
	v_lshrrev_b32_e32 v84, 9, v84
	v_add_co_u32 v123, vcc_lo, 0x1800, v117
	v_add_co_ci_u32_e32 v124, vcc_lo, 0, v118, vcc_lo
	v_add_co_u32 v125, vcc_lo, 0x3800, v117
	v_add_co_ci_u32_e32 v126, vcc_lo, 0, v118, vcc_lo
	s_waitcnt vmcnt(9)
	v_mul_f32_e32 v4, v33, v49
	v_mul_f32_e32 v89, v35, v51
	s_waitcnt lgkmcnt(1)
	v_mul_f32_e32 v49, v108, v49
	s_waitcnt lgkmcnt(0)
	v_mul_f32_e32 v51, v110, v51
	s_waitcnt vmcnt(8)
	v_mul_f32_e32 v128, v32, v53
	v_mul_f32_e32 v129, v34, v55
	;; [unrolled: 1-line block ×4, first 2 shown]
	v_fma_f32 v4, v48, v108, -v4
	v_fma_f32 v89, v50, v110, -v89
	v_fmac_f32_e32 v49, v33, v48
	v_fmac_f32_e32 v51, v35, v50
	v_fma_f32 v33, v52, v107, -v128
	v_fma_f32 v35, v54, v109, -v129
	v_fmac_f32_e32 v53, v32, v52
	v_fmac_f32_e32 v55, v34, v54
	v_add_f32_e32 v32, v4, v89
	v_sub_f32_e32 v52, v49, v51
	v_add_f32_e32 v48, v49, v51
	v_add_f32_e32 v49, v31, v49
	;; [unrolled: 1-line block ×3, first 2 shown]
	v_sub_f32_e32 v54, v53, v55
	v_add_f32_e32 v107, v74, v33
	v_add_f32_e32 v108, v53, v55
	;; [unrolled: 1-line block ×4, first 2 shown]
	v_sub_f32_e32 v4, v4, v89
	v_sub_f32_e32 v109, v33, v35
	v_fma_f32 v32, -0.5, v32, v75
	v_fma_f32 v31, -0.5, v48, v31
	v_add_f32_e32 v33, v49, v51
	v_fma_f32 v49, -0.5, v50, v74
	v_add_f32_e32 v51, v107, v35
	v_fma_f32 v48, -0.5, v108, v30
	v_add_f32_e32 v50, v53, v55
	s_waitcnt vmcnt(7)
	v_mul_f32_e32 v30, v27, v57
	v_mul_f32_e32 v35, v29, v59
	;; [unrolled: 1-line block ×4, first 2 shown]
	v_add_f32_e32 v34, v34, v89
	v_fmamk_f32 v53, v52, 0xbf5db3d7, v32
	v_fmac_f32_e32 v32, 0x3f5db3d7, v52
	v_fmamk_f32 v52, v4, 0x3f5db3d7, v31
	v_fmac_f32_e32 v31, 0xbf5db3d7, v4
	;; [unrolled: 2-line block ×4, first 2 shown]
	global_store_dwordx2 v[0:1], v[50:51], off
	global_store_dwordx2 v[0:1], v[33:34], off offset:720
	v_fma_f32 v4, v56, v73, -v30
	v_fma_f32 v30, v58, v86, -v35
	v_fmac_f32_e32 v57, v27, v56
	v_fmac_f32_e32 v59, v29, v58
	s_waitcnt vmcnt(6)
	v_mul_f32_e32 v27, v26, v61
	v_mul_f32_e32 v29, v28, v63
	;; [unrolled: 1-line block ×4, first 2 shown]
	global_store_dwordx2 v[2:3], v[48:49], off offset:1056
	global_store_dwordx2 v[111:112], v[54:55], off offset:64
	global_store_dwordx2 v[2:3], v[31:32], off offset:1776
	global_store_dwordx2 v[111:112], v[52:53], off offset:784
	v_add_f32_e32 v2, v4, v30
	v_add_f32_e32 v32, v43, v4
	;; [unrolled: 1-line block ×3, first 2 shown]
	v_fma_f32 v27, v60, v72, -v27
	v_fma_f32 v29, v62, v85, -v29
	v_fmac_f32_e32 v33, v26, v60
	v_fmac_f32_e32 v34, v28, v62
	s_waitcnt vmcnt(5)
	v_mul_f32_e32 v28, v21, v45
	v_mul_f32_e32 v49, v23, v47
	;; [unrolled: 1-line block ×4, first 2 shown]
	v_sub_f32_e32 v31, v57, v59
	v_sub_f32_e32 v4, v4, v30
	v_add_f32_e32 v48, v25, v57
	v_fma_f32 v3, -0.5, v2, v43
	v_add_f32_e32 v26, v32, v30
	v_fma_f32 v2, -0.5, v35, v25
	v_add_f32_e32 v30, v27, v29
	v_sub_f32_e32 v35, v33, v34
	v_add_f32_e32 v32, v42, v27
	v_add_f32_e32 v43, v33, v34
	;; [unrolled: 1-line block ×3, first 2 shown]
	v_fma_f32 v50, v44, v102, -v28
	v_fma_f32 v49, v46, v95, -v49
	v_fmac_f32_e32 v45, v21, v44
	v_fmac_f32_e32 v47, v23, v46
	s_waitcnt vmcnt(4)
	v_mul_f32_e32 v21, v20, v65
	v_mul_f32_e32 v23, v22, v67
	v_mul_f32_e32 v44, v101, v65
	v_mul_f32_e32 v46, v94, v67
	v_add_f32_e32 v25, v48, v59
	v_sub_f32_e32 v48, v27, v29
	v_fmamk_f32 v28, v31, 0xbf5db3d7, v3
	v_fmac_f32_e32 v3, 0x3f5db3d7, v31
	v_fmamk_f32 v27, v4, 0x3f5db3d7, v2
	v_fmac_f32_e32 v2, 0xbf5db3d7, v4
	v_fma_f32 v30, -0.5, v30, v42
	v_add_f32_e32 v32, v32, v29
	v_fma_f32 v29, -0.5, v43, v24
	v_add_f32_e32 v31, v33, v34
	v_add_f32_e32 v4, v50, v49
	v_sub_f32_e32 v24, v45, v47
	v_add_f32_e32 v33, v100, v50
	v_add_f32_e32 v42, v45, v47
	v_sub_f32_e32 v43, v50, v49
	v_add_f32_e32 v45, v19, v45
	v_fma_f32 v50, v64, v101, -v21
	v_fma_f32 v51, v66, v94, -v23
	v_fmac_f32_e32 v44, v20, v64
	v_fmac_f32_e32 v46, v22, v66
	s_waitcnt vmcnt(3)
	v_mul_f32_e32 v52, v15, v69
	v_mul_f32_e32 v53, v17, v71
	v_mul_f32_e32 v54, v91, v69
	v_mul_f32_e32 v55, v93, v71
	v_fmamk_f32 v20, v48, 0x3f5db3d7, v29
	v_fmac_f32_e32 v29, 0xbf5db3d7, v48
	v_fma_f32 v23, -0.5, v4, v100
	v_add_f32_e32 v34, v33, v49
	v_fma_f32 v22, -0.5, v42, v19
	v_add_f32_e32 v33, v45, v47
	v_add_f32_e32 v4, v50, v51
	;; [unrolled: 1-line block ×4, first 2 shown]
	v_sub_f32_e32 v48, v50, v51
	v_add_f32_e32 v49, v18, v44
	v_fma_f32 v50, v68, v91, -v52
	v_fma_f32 v52, v70, v93, -v53
	v_fmac_f32_e32 v54, v15, v68
	v_fmac_f32_e32 v55, v17, v70
	s_waitcnt vmcnt(2)
	v_mul_f32_e32 v15, v14, v39
	v_mul_f32_e32 v17, v16, v41
	;; [unrolled: 1-line block ×4, first 2 shown]
	v_fmamk_f32 v21, v35, 0xbf5db3d7, v30
	v_fmac_f32_e32 v30, 0x3f5db3d7, v35
	v_sub_f32_e32 v35, v44, v46
	v_fmamk_f32 v42, v24, 0xbf5db3d7, v23
	v_fmac_f32_e32 v23, 0x3f5db3d7, v24
	v_fmamk_f32 v41, v43, 0x3f5db3d7, v22
	v_fmac_f32_e32 v22, 0xbf5db3d7, v43
	v_fma_f32 v19, -0.5, v4, v99
	v_add_f32_e32 v44, v45, v51
	v_fma_f32 v18, -0.5, v47, v18
	v_add_f32_e32 v43, v49, v46
	v_add_f32_e32 v4, v50, v52
	v_sub_f32_e32 v24, v54, v55
	v_add_f32_e32 v39, v104, v50
	v_add_f32_e32 v45, v54, v55
	v_sub_f32_e32 v46, v50, v52
	v_add_f32_e32 v47, v9, v54
	v_fma_f32 v49, v38, v90, -v15
	v_fma_f32 v50, v40, v92, -v17
	v_fmac_f32_e32 v53, v14, v38
	v_fmac_f32_e32 v56, v16, v40
	s_waitcnt vmcnt(1)
	v_mul_f32_e32 v40, v11, v77
	v_mul_f32_e32 v54, v106, v77
	;; [unrolled: 1-line block ×3, first 2 shown]
	s_waitcnt vmcnt(0)
	v_mul_f32_e32 v58, v10, v81
	v_mul_f32_e32 v59, v12, v83
	;; [unrolled: 1-line block ×5, first 2 shown]
	v_fmamk_f32 v15, v35, 0xbf5db3d7, v19
	v_fmac_f32_e32 v19, 0x3f5db3d7, v35
	v_fmamk_f32 v14, v48, 0x3f5db3d7, v18
	v_fmac_f32_e32 v18, 0xbf5db3d7, v48
	v_fma_f32 v16, -0.5, v45, v9
	v_add_f32_e32 v38, v47, v55
	v_sub_f32_e32 v35, v53, v56
	v_add_f32_e32 v45, v103, v49
	v_add_f32_e32 v47, v53, v56
	;; [unrolled: 1-line block ×3, first 2 shown]
	v_fma_f32 v40, v76, v106, -v40
	v_fmac_f32_e32 v54, v11, v76
	v_fmac_f32_e32 v57, v13, v78
	v_fma_f32 v13, v80, v105, -v58
	v_fma_f32 v53, v82, v96, -v59
	v_fmac_f32_e32 v60, v10, v80
	v_fmac_f32_e32 v61, v12, v82
	v_fma_f32 v17, -0.5, v4, v104
	v_add_f32_e32 v4, v49, v50
	v_fma_f32 v51, v78, v97, -v51
	v_add_f32_e32 v39, v39, v52
	v_sub_f32_e32 v49, v49, v50
	v_fmamk_f32 v9, v46, 0x3f5db3d7, v16
	v_fmac_f32_e32 v16, 0xbf5db3d7, v46
	v_add_f32_e32 v46, v45, v50
	v_add_f32_e32 v50, v88, v40
	;; [unrolled: 1-line block ×5, first 2 shown]
	v_fmamk_f32 v10, v24, 0xbf5db3d7, v17
	v_fmac_f32_e32 v17, 0x3f5db3d7, v24
	v_fma_f32 v12, -0.5, v4, v103
	v_fma_f32 v11, -0.5, v47, v8
	v_add_f32_e32 v45, v48, v56
	v_add_f32_e32 v4, v40, v51
	v_sub_f32_e32 v24, v54, v57
	v_add_f32_e32 v54, v7, v54
	v_sub_f32_e32 v58, v60, v61
	v_add_f32_e32 v56, v87, v13
	v_add_f32_e32 v60, v6, v60
	v_sub_f32_e32 v40, v40, v51
	v_sub_f32_e32 v13, v13, v53
	v_add_f32_e32 v50, v50, v51
	v_fma_f32 v7, -0.5, v52, v7
	v_fma_f32 v52, -0.5, v55, v87
	;; [unrolled: 1-line block ×3, first 2 shown]
	v_fmamk_f32 v47, v49, 0x3f5db3d7, v11
	v_fmac_f32_e32 v11, 0xbf5db3d7, v49
	v_fma_f32 v8, -0.5, v4, v88
	v_add_f32_e32 v49, v54, v57
	v_add_f32_e32 v54, v56, v53
	;; [unrolled: 1-line block ×3, first 2 shown]
	v_fmamk_f32 v48, v35, 0xbf5db3d7, v12
	v_fmac_f32_e32 v12, 0x3f5db3d7, v35
	v_fmamk_f32 v56, v58, 0xbf5db3d7, v52
	v_fmac_f32_e32 v52, 0x3f5db3d7, v58
	;; [unrolled: 2-line block ×3, first 2 shown]
	global_store_dwordx2 v[115:116], v[45:46], off offset:832
	v_fmamk_f32 v46, v24, 0xbf5db3d7, v8
	v_fmac_f32_e32 v8, 0x3f5db3d7, v24
	v_fmamk_f32 v45, v40, 0x3f5db3d7, v7
	v_fmac_f32_e32 v7, 0xbf5db3d7, v40
	global_store_dwordx2 v[0:1], v[53:54], off offset:1440
	global_store_dwordx2 v[115:116], v[49:50], off offset:112
	;; [unrolled: 1-line block ×8, first 2 shown]
	global_store_dwordx2 v[117:118], v[38:39], off
	global_store_dwordx2 v[123:124], v[16:17], off offset:1056
	v_mul_hi_u32 v11, 0x91a2b3c5, v36
	v_mad_u32_u24 v4, 0x708, v84, v37
	v_add_co_u32 v6, vcc_lo, 0x2800, v0
	global_store_dwordx2 v[125:126], v[9:10], off offset:64
	v_add_co_ci_u32_e32 v7, vcc_lo, 0, v1, vcc_lo
	v_lshlrev_b64 v[8:9], 3, v[4:5]
	v_lshrrev_b32_e32 v4, 9, v11
	v_add_co_u32 v0, vcc_lo, 0x4800, v0
	v_add_co_ci_u32_e32 v1, vcc_lo, 0, v1, vcc_lo
	v_mad_u32_u24 v4, 0x708, v4, v36
	v_add_co_u32 v8, vcc_lo, v98, v8
	v_add_co_ci_u32_e32 v9, vcc_lo, v127, v9, vcc_lo
	global_store_dwordx2 v[121:122], v[43:44], off offset:224
	global_store_dwordx2 v[6:7], v[18:19], off offset:1280
	;; [unrolled: 1-line block ×6, first 2 shown]
	global_store_dwordx2 v[8:9], v[31:32], off
	v_lshlrev_b64 v[0:1], 3, v[4:5]
	v_add_co_u32 v4, vcc_lo, 0x1800, v8
	v_add_co_ci_u32_e32 v5, vcc_lo, 0, v9, vcc_lo
	v_add_co_u32 v0, vcc_lo, v98, v0
	v_add_co_ci_u32_e32 v1, vcc_lo, v127, v1, vcc_lo
	;; [unrolled: 2-line block ×5, first 2 shown]
	global_store_dwordx2 v[4:5], v[29:30], off offset:1056
	global_store_dwordx2 v[6:7], v[20:21], off offset:64
	global_store_dwordx2 v[0:1], v[25:26], off
	global_store_dwordx2 v[8:9], v[2:3], off offset:1056
	global_store_dwordx2 v[10:11], v[27:28], off offset:64
.LBB0_13:
	s_endpgm
	.section	.rodata,"a",@progbits
	.p2align	6, 0x0
	.amdhsa_kernel fft_rtc_back_len2700_factors_3_10_10_3_3_wgs_90_tpt_90_halfLds_sp_ip_CI_unitstride_sbrr_dirReg
		.amdhsa_group_segment_fixed_size 0
		.amdhsa_private_segment_fixed_size 0
		.amdhsa_kernarg_size 88
		.amdhsa_user_sgpr_count 6
		.amdhsa_user_sgpr_private_segment_buffer 1
		.amdhsa_user_sgpr_dispatch_ptr 0
		.amdhsa_user_sgpr_queue_ptr 0
		.amdhsa_user_sgpr_kernarg_segment_ptr 1
		.amdhsa_user_sgpr_dispatch_id 0
		.amdhsa_user_sgpr_flat_scratch_init 0
		.amdhsa_user_sgpr_private_segment_size 0
		.amdhsa_wavefront_size32 1
		.amdhsa_uses_dynamic_stack 0
		.amdhsa_system_sgpr_private_segment_wavefront_offset 0
		.amdhsa_system_sgpr_workgroup_id_x 1
		.amdhsa_system_sgpr_workgroup_id_y 0
		.amdhsa_system_sgpr_workgroup_id_z 0
		.amdhsa_system_sgpr_workgroup_info 0
		.amdhsa_system_vgpr_workitem_id 0
		.amdhsa_next_free_vgpr 158
		.amdhsa_next_free_sgpr 21
		.amdhsa_reserve_vcc 1
		.amdhsa_reserve_flat_scratch 0
		.amdhsa_float_round_mode_32 0
		.amdhsa_float_round_mode_16_64 0
		.amdhsa_float_denorm_mode_32 3
		.amdhsa_float_denorm_mode_16_64 3
		.amdhsa_dx10_clamp 1
		.amdhsa_ieee_mode 1
		.amdhsa_fp16_overflow 0
		.amdhsa_workgroup_processor_mode 1
		.amdhsa_memory_ordered 1
		.amdhsa_forward_progress 0
		.amdhsa_shared_vgpr_count 0
		.amdhsa_exception_fp_ieee_invalid_op 0
		.amdhsa_exception_fp_denorm_src 0
		.amdhsa_exception_fp_ieee_div_zero 0
		.amdhsa_exception_fp_ieee_overflow 0
		.amdhsa_exception_fp_ieee_underflow 0
		.amdhsa_exception_fp_ieee_inexact 0
		.amdhsa_exception_int_div_zero 0
	.end_amdhsa_kernel
	.text
.Lfunc_end0:
	.size	fft_rtc_back_len2700_factors_3_10_10_3_3_wgs_90_tpt_90_halfLds_sp_ip_CI_unitstride_sbrr_dirReg, .Lfunc_end0-fft_rtc_back_len2700_factors_3_10_10_3_3_wgs_90_tpt_90_halfLds_sp_ip_CI_unitstride_sbrr_dirReg
                                        ; -- End function
	.section	.AMDGPU.csdata,"",@progbits
; Kernel info:
; codeLenInByte = 16628
; NumSgprs: 23
; NumVgprs: 158
; ScratchSize: 0
; MemoryBound: 0
; FloatMode: 240
; IeeeMode: 1
; LDSByteSize: 0 bytes/workgroup (compile time only)
; SGPRBlocks: 2
; VGPRBlocks: 19
; NumSGPRsForWavesPerEU: 23
; NumVGPRsForWavesPerEU: 158
; Occupancy: 6
; WaveLimiterHint : 1
; COMPUTE_PGM_RSRC2:SCRATCH_EN: 0
; COMPUTE_PGM_RSRC2:USER_SGPR: 6
; COMPUTE_PGM_RSRC2:TRAP_HANDLER: 0
; COMPUTE_PGM_RSRC2:TGID_X_EN: 1
; COMPUTE_PGM_RSRC2:TGID_Y_EN: 0
; COMPUTE_PGM_RSRC2:TGID_Z_EN: 0
; COMPUTE_PGM_RSRC2:TIDIG_COMP_CNT: 0
	.text
	.p2alignl 6, 3214868480
	.fill 48, 4, 3214868480
	.type	__hip_cuid_7fa15f7ee978212c,@object ; @__hip_cuid_7fa15f7ee978212c
	.section	.bss,"aw",@nobits
	.globl	__hip_cuid_7fa15f7ee978212c
__hip_cuid_7fa15f7ee978212c:
	.byte	0                               ; 0x0
	.size	__hip_cuid_7fa15f7ee978212c, 1

	.ident	"AMD clang version 19.0.0git (https://github.com/RadeonOpenCompute/llvm-project roc-6.4.0 25133 c7fe45cf4b819c5991fe208aaa96edf142730f1d)"
	.section	".note.GNU-stack","",@progbits
	.addrsig
	.addrsig_sym __hip_cuid_7fa15f7ee978212c
	.amdgpu_metadata
---
amdhsa.kernels:
  - .args:
      - .actual_access:  read_only
        .address_space:  global
        .offset:         0
        .size:           8
        .value_kind:     global_buffer
      - .offset:         8
        .size:           8
        .value_kind:     by_value
      - .actual_access:  read_only
        .address_space:  global
        .offset:         16
        .size:           8
        .value_kind:     global_buffer
      - .actual_access:  read_only
        .address_space:  global
        .offset:         24
        .size:           8
        .value_kind:     global_buffer
      - .offset:         32
        .size:           8
        .value_kind:     by_value
      - .actual_access:  read_only
        .address_space:  global
        .offset:         40
        .size:           8
        .value_kind:     global_buffer
      - .actual_access:  read_only
        .address_space:  global
        .offset:         48
        .size:           8
        .value_kind:     global_buffer
      - .offset:         56
        .size:           4
        .value_kind:     by_value
      - .actual_access:  read_only
        .address_space:  global
        .offset:         64
        .size:           8
        .value_kind:     global_buffer
      - .actual_access:  read_only
        .address_space:  global
        .offset:         72
        .size:           8
        .value_kind:     global_buffer
      - .address_space:  global
        .offset:         80
        .size:           8
        .value_kind:     global_buffer
    .group_segment_fixed_size: 0
    .kernarg_segment_align: 8
    .kernarg_segment_size: 88
    .language:       OpenCL C
    .language_version:
      - 2
      - 0
    .max_flat_workgroup_size: 90
    .name:           fft_rtc_back_len2700_factors_3_10_10_3_3_wgs_90_tpt_90_halfLds_sp_ip_CI_unitstride_sbrr_dirReg
    .private_segment_fixed_size: 0
    .sgpr_count:     23
    .sgpr_spill_count: 0
    .symbol:         fft_rtc_back_len2700_factors_3_10_10_3_3_wgs_90_tpt_90_halfLds_sp_ip_CI_unitstride_sbrr_dirReg.kd
    .uniform_work_group_size: 1
    .uses_dynamic_stack: false
    .vgpr_count:     158
    .vgpr_spill_count: 0
    .wavefront_size: 32
    .workgroup_processor_mode: 1
amdhsa.target:   amdgcn-amd-amdhsa--gfx1030
amdhsa.version:
  - 1
  - 2
...

	.end_amdgpu_metadata
